;; amdgpu-corpus repo=ROCm/rocFFT kind=compiled arch=gfx1201 opt=O3
	.text
	.amdgcn_target "amdgcn-amd-amdhsa--gfx1201"
	.amdhsa_code_object_version 6
	.protected	bluestein_single_back_len1521_dim1_sp_op_CI_CI ; -- Begin function bluestein_single_back_len1521_dim1_sp_op_CI_CI
	.globl	bluestein_single_back_len1521_dim1_sp_op_CI_CI
	.p2align	8
	.type	bluestein_single_back_len1521_dim1_sp_op_CI_CI,@function
bluestein_single_back_len1521_dim1_sp_op_CI_CI: ; @bluestein_single_back_len1521_dim1_sp_op_CI_CI
; %bb.0:
	s_load_b128 s[12:15], s[0:1], 0x28
	v_mul_u32_u24_e32 v1, 0x231, v0
	s_mov_b32 s2, exec_lo
	v_mov_b32_e32 v101, 0
	s_delay_alu instid0(VALU_DEP_2) | instskip(NEXT) | instid1(VALU_DEP_1)
	v_lshrrev_b32_e32 v1, 16, v1
	v_add_nc_u32_e32 v100, ttmp9, v1
	s_wait_kmcnt 0x0
	s_delay_alu instid0(VALU_DEP_1)
	v_cmpx_gt_u64_e64 s[12:13], v[100:101]
	s_cbranch_execz .LBB0_18
; %bb.1:
	s_clause 0x1
	s_load_b128 s[4:7], s[0:1], 0x18
	s_load_b128 s[8:11], s[0:1], 0x0
	v_mul_lo_u16 v1, 0x75, v1
	s_load_b64 s[0:1], s[0:1], 0x38
	s_delay_alu instid0(VALU_DEP_1) | instskip(NEXT) | instid1(VALU_DEP_1)
	v_sub_nc_u16 v44, v0, v1
	v_and_b32_e32 v122, 0xffff, v44
	s_wait_kmcnt 0x0
	s_load_b128 s[16:19], s[4:5], 0x0
	s_wait_kmcnt 0x0
	v_mad_co_u64_u32 v[0:1], null, s18, v100, 0
	v_mad_co_u64_u32 v[2:3], null, s16, v122, 0
	s_mul_u64 s[2:3], s[16:17], 0x3a8
	s_delay_alu instid0(VALU_DEP_1) | instskip(NEXT) | instid1(VALU_DEP_1)
	v_mad_co_u64_u32 v[4:5], null, s19, v100, v[1:2]
	v_mov_b32_e32 v1, v4
	s_delay_alu instid0(VALU_DEP_3)
	v_mad_co_u64_u32 v[5:6], null, s17, v122, v[3:4]
	v_lshlrev_b32_e32 v121, 3, v122
	s_clause 0x3
	global_load_b64 v[111:112], v121, s[8:9]
	global_load_b64 v[113:114], v121, s[8:9] offset:936
	global_load_b64 v[109:110], v121, s[8:9] offset:1872
	;; [unrolled: 1-line block ×3, first 2 shown]
	v_mov_b32_e32 v3, v5
	v_lshlrev_b64_e32 v[0:1], 3, v[0:1]
	s_clause 0x6
	global_load_b64 v[107:108], v121, s[8:9] offset:3744
	global_load_b64 v[92:93], v121, s[8:9] offset:4680
	global_load_b64 v[96:97], v121, s[8:9] offset:5616
	global_load_b64 v[98:99], v121, s[8:9] offset:6552
	global_load_b64 v[88:89], v121, s[8:9] offset:7488
	global_load_b64 v[94:95], v121, s[8:9] offset:8424
	global_load_b64 v[90:91], v121, s[8:9] offset:9360
	v_lshlrev_b64_e32 v[2:3], 3, v[2:3]
	v_add_co_u32 v0, vcc_lo, s14, v0
	v_add_co_ci_u32_e32 v1, vcc_lo, s15, v1, vcc_lo
	s_delay_alu instid0(VALU_DEP_2) | instskip(SKIP_1) | instid1(VALU_DEP_2)
	v_add_co_u32 v0, vcc_lo, v0, v2
	s_wait_alu 0xfffd
	v_add_co_ci_u32_e32 v1, vcc_lo, v1, v3, vcc_lo
	s_delay_alu instid0(VALU_DEP_2) | instskip(SKIP_1) | instid1(VALU_DEP_2)
	v_add_co_u32 v2, vcc_lo, v0, s2
	s_wait_alu 0xfffd
	v_add_co_ci_u32_e32 v3, vcc_lo, s3, v1, vcc_lo
	global_load_b64 v[0:1], v[0:1], off
	v_add_co_u32 v4, vcc_lo, v2, s2
	s_wait_alu 0xfffd
	v_add_co_ci_u32_e32 v5, vcc_lo, s3, v3, vcc_lo
	s_delay_alu instid0(VALU_DEP_2) | instskip(SKIP_1) | instid1(VALU_DEP_2)
	v_add_co_u32 v6, vcc_lo, v4, s2
	s_wait_alu 0xfffd
	v_add_co_ci_u32_e32 v7, vcc_lo, s3, v5, vcc_lo
	s_delay_alu instid0(VALU_DEP_2) | instskip(SKIP_1) | instid1(VALU_DEP_2)
	v_add_co_u32 v8, vcc_lo, v6, s2
	s_wait_alu 0xfffd
	v_add_co_ci_u32_e32 v9, vcc_lo, s3, v7, vcc_lo
	s_clause 0x2
	global_load_b64 v[2:3], v[2:3], off
	global_load_b64 v[4:5], v[4:5], off
	;; [unrolled: 1-line block ×3, first 2 shown]
	v_add_co_u32 v10, vcc_lo, v8, s2
	s_wait_alu 0xfffd
	v_add_co_ci_u32_e32 v11, vcc_lo, s3, v9, vcc_lo
	global_load_b64 v[8:9], v[8:9], off
	v_add_co_u32 v12, vcc_lo, v10, s2
	s_wait_alu 0xfffd
	v_add_co_ci_u32_e32 v13, vcc_lo, s3, v11, vcc_lo
	global_load_b64 v[10:11], v[10:11], off
	;; [unrolled: 4-line block ×7, first 2 shown]
	v_add_co_u32 v24, vcc_lo, v22, s2
	s_wait_alu 0xfffd
	v_add_co_ci_u32_e32 v25, vcc_lo, s3, v23, vcc_lo
	v_cmp_gt_u16_e32 vcc_lo, 39, v44
	s_wait_loadcnt 0xa
	v_mul_f32_e32 v30, v1, v112
	global_load_b64 v[101:102], v121, s[8:9] offset:10296
	global_load_b64 v[26:27], v[22:23], off
	global_load_b64 v[103:104], v121, s[8:9] offset:11232
	global_load_b64 v[24:25], v[24:25], off
	v_add_nc_u32_e32 v22, 0x400, v121
	v_dual_mul_f32 v31, v0, v112 :: v_dual_add_nc_u32 v28, 0x1400, v121
	v_dual_fmac_f32 v30, v0, v111 :: v_dual_add_nc_u32 v23, 0xc00, v121
	v_add_nc_u32_e32 v29, 0x1c00, v121
	v_add_nc_u32_e32 v32, 0x2400, v121
	s_delay_alu instid0(VALU_DEP_4)
	v_fma_f32 v31, v1, v111, -v31
	s_load_b128 s[4:7], s[6:7], 0x0
	s_wait_loadcnt 0xd
	v_mul_f32_e32 v33, v3, v114
	s_wait_loadcnt 0xc
	v_mul_f32_e32 v0, v5, v110
	v_mul_f32_e32 v1, v2, v114
	s_wait_loadcnt 0xb
	v_mul_f32_e32 v36, v6, v106
	v_dual_fmac_f32 v33, v2, v113 :: v_dual_mul_f32 v2, v7, v106
	v_mul_f32_e32 v35, v4, v110
	v_fmac_f32_e32 v0, v4, v109
	v_fma_f32 v34, v3, v113, -v1
	s_wait_loadcnt 0xa
	v_mul_f32_e32 v4, v9, v108
	v_fmac_f32_e32 v2, v6, v105
	v_fma_f32 v1, v5, v109, -v35
	v_mul_f32_e32 v5, v8, v108
	v_fma_f32 v3, v7, v105, -v36
	s_wait_loadcnt 0x9
	v_mul_f32_e32 v6, v11, v93
	ds_store_2addr_b64 v121, v[30:31], v[33:34] offset1:117
	v_fma_f32 v5, v9, v107, -v5
	ds_store_2addr_b64 v22, v[0:1], v[2:3] offset0:106 offset1:223
	v_mul_f32_e32 v1, v10, v93
	s_wait_loadcnt 0x8
	v_mul_f32_e32 v3, v12, v97
	s_wait_loadcnt 0x7
	v_mul_f32_e32 v9, v14, v99
	v_fmac_f32_e32 v6, v10, v92
	v_mul_f32_e32 v0, v13, v97
	v_mul_f32_e32 v2, v15, v99
	v_fmac_f32_e32 v4, v8, v107
	v_fma_f32 v7, v11, v92, -v1
	v_fma_f32 v1, v13, v96, -v3
	s_wait_loadcnt 0x6
	v_mul_f32_e32 v8, v17, v89
	v_fma_f32 v3, v15, v98, -v9
	s_wait_loadcnt 0x5
	v_dual_mul_f32 v9, v16, v89 :: v_dual_mul_f32 v10, v19, v95
	v_dual_mul_f32 v11, v18, v95 :: v_dual_fmac_f32 v0, v12, v96
	v_fmac_f32_e32 v2, v14, v98
	s_delay_alu instid0(VALU_DEP_3)
	v_fma_f32 v9, v17, v88, -v9
	s_wait_loadcnt 0x4
	v_mul_f32_e32 v13, v20, v91
	v_mul_f32_e32 v12, v21, v91
	v_fmac_f32_e32 v10, v18, v94
	v_fma_f32 v11, v19, v94, -v11
	s_delay_alu instid0(VALU_DEP_4) | instskip(NEXT) | instid1(VALU_DEP_4)
	v_fma_f32 v13, v21, v90, -v13
	v_fmac_f32_e32 v12, v20, v90
	s_wait_loadcnt 0x2
	v_mul_f32_e32 v14, v27, v102
	v_mul_f32_e32 v15, v26, v102
	s_wait_loadcnt 0x0
	v_mul_f32_e32 v17, v24, v104
	v_fmac_f32_e32 v8, v16, v88
	v_mul_f32_e32 v16, v25, v104
	v_fmac_f32_e32 v14, v26, v101
	v_fma_f32 v15, v27, v101, -v15
	v_fma_f32 v17, v25, v103, -v17
	s_delay_alu instid0(VALU_DEP_4)
	v_fmac_f32_e32 v16, v24, v103
	ds_store_2addr_b64 v23, v[4:5], v[6:7] offset0:84 offset1:201
	ds_store_2addr_b64 v28, v[0:1], v[2:3] offset0:62 offset1:179
	;; [unrolled: 1-line block ×4, first 2 shown]
	ds_store_b64 v121, v[16:17] offset:11232
	global_wb scope:SCOPE_SE
	s_wait_dscnt 0x0
	s_wait_kmcnt 0x0
	s_barrier_signal -1
	s_barrier_wait -1
	global_inv scope:SCOPE_SE
	ds_load_2addr_b64 v[8:11], v121 offset1:117
	ds_load_b64 v[20:21], v121 offset:11232
	ds_load_2addr_b64 v[16:19], v22 offset0:106 offset1:223
	ds_load_2addr_b64 v[0:3], v32 offset0:18 offset1:135
	ds_load_2addr_b64 v[12:15], v23 offset0:84 offset1:201
	ds_load_2addr_b64 v[4:7], v29 offset0:40 offset1:157
	ds_load_2addr_b64 v[24:27], v28 offset0:62 offset1:179
	global_wb scope:SCOPE_SE
	s_wait_dscnt 0x0
	s_barrier_signal -1
	s_barrier_wait -1
	global_inv scope:SCOPE_SE
	v_dual_add_f32 v30, v8, v10 :: v_dual_add_f32 v31, v9, v11
	v_dual_add_f32 v33, v20, v10 :: v_dual_add_f32 v34, v21, v11
	v_dual_sub_f32 v10, v10, v20 :: v_dual_add_f32 v49, v5, v15
	v_sub_f32_e32 v11, v11, v21
	v_dual_add_f32 v35, v2, v16 :: v_dual_add_f32 v36, v3, v17
	v_sub_f32_e32 v53, v25, v27
	v_dual_sub_f32 v37, v16, v2 :: v_dual_sub_f32 v38, v17, v3
	v_dual_add_f32 v17, v31, v17 :: v_dual_add_f32 v40, v1, v19
	v_mul_f32_e32 v31, 0xbeedf032, v10
	v_dual_sub_f32 v41, v18, v0 :: v_dual_sub_f32 v42, v19, v1
	v_mul_f32_e32 v57, 0xbf52af12, v10
	v_dual_sub_f32 v47, v13, v7 :: v_dual_sub_f32 v50, v14, v4
	v_mul_f32_e32 v59, 0xbf7e222b, v10
	v_dual_sub_f32 v54, v24, v26 :: v_dual_mul_f32 v67, 0xbf6f5d39, v37
	v_dual_add_f32 v16, v30, v16 :: v_dual_mul_f32 v63, 0xbf29c268, v10
	v_dual_mul_f32 v58, 0xbf7e222b, v11 :: v_dual_mul_f32 v75, 0xbf7e222b, v41
	v_sub_f32_e32 v46, v12, v6
	v_dual_add_f32 v48, v4, v14 :: v_dual_mul_f32 v65, 0xbf52af12, v37
	v_dual_sub_f32 v51, v15, v5 :: v_dual_add_f32 v52, v26, v24
	v_mul_f32_e32 v61, 0xbf6f5d39, v10
	v_dual_add_f32 v55, v27, v25 :: v_dual_mul_f32 v56, 0xbf52af12, v11
	v_mul_f32_e32 v83, 0xbf52af12, v41
	v_mul_f32_e32 v60, 0xbf6f5d39, v11
	;; [unrolled: 1-line block ×3, first 2 shown]
	v_dual_mul_f32 v10, 0xbe750f2a, v10 :: v_dual_mul_f32 v69, 0xbe750f2a, v37
	v_dual_mul_f32 v68, 0xbe750f2a, v38 :: v_dual_mul_f32 v77, 0xbe750f2a, v41
	v_dual_mul_f32 v82, 0xbf52af12, v42 :: v_dual_add_f32 v17, v17, v19
	v_dual_add_f32 v16, v16, v18 :: v_dual_fmamk_f32 v19, v34, 0x3f62ad3f, v31
	v_fma_f32 v31, 0x3f62ad3f, v34, -v31
	v_fmamk_f32 v139, v34, 0x3f116cb1, v57
	v_fma_f32 v57, 0x3f116cb1, v34, -v57
	v_mul_f32_e32 v30, 0xbeedf032, v11
	v_mul_f32_e32 v11, 0xbe750f2a, v11
	v_fma_f32 v140, 0x3df6dbef, v33, -v58
	v_dual_fmamk_f32 v141, v34, 0x3df6dbef, v59 :: v_dual_fmac_f32 v58, 0x3df6dbef, v33
	v_fma_f32 v59, 0x3df6dbef, v34, -v59
	v_mul_f32_e32 v134, 0xbe750f2a, v54
	v_add_f32_e32 v39, v0, v18
	v_add_f32_e32 v43, v6, v12
	;; [unrolled: 1-line block ×3, first 2 shown]
	v_dual_add_f32 v59, v9, v59 :: v_dual_mul_f32 v64, 0xbf52af12, v38
	v_mul_f32_e32 v125, 0xbf52af12, v51
	v_mul_f32_e32 v66, 0xbf6f5d39, v38
	v_dual_mul_f32 v70, 0x3f29c268, v38 :: v_dual_mul_f32 v71, 0x3f29c268, v37
	v_dual_mul_f32 v72, 0x3f7e222b, v38 :: v_dual_mul_f32 v73, 0x3f7e222b, v37
	;; [unrolled: 1-line block ×8, first 2 shown]
	v_mul_f32_e32 v41, 0xbf29c268, v41
	v_dual_mul_f32 v84, 0xbf6f5d39, v47 :: v_dual_add_f32 v141, v9, v141
	v_mul_f32_e32 v85, 0xbf6f5d39, v46
	v_dual_mul_f32 v86, 0x3f29c268, v47 :: v_dual_mul_f32 v117, 0x3f29c268, v46
	v_dual_mul_f32 v87, 0x3eedf032, v47 :: v_dual_mul_f32 v118, 0x3eedf032, v46
	;; [unrolled: 1-line block ×3, first 2 shown]
	v_mul_f32_e32 v47, 0x3f52af12, v47
	v_dual_mul_f32 v120, 0x3e750f2a, v46 :: v_dual_add_f32 v19, v9, v19
	v_dual_mul_f32 v124, 0x3f7e222b, v51 :: v_dual_mul_f32 v129, 0x3f7e222b, v50
	v_dual_mul_f32 v127, 0x3eedf032, v51 :: v_dual_mul_f32 v132, 0x3eedf032, v50
	;; [unrolled: 1-line block ×3, first 2 shown]
	v_dual_mul_f32 v130, 0xbf52af12, v50 :: v_dual_add_f32 v31, v9, v31
	v_dual_mul_f32 v135, 0x3eedf032, v53 :: v_dual_mul_f32 v136, 0x3eedf032, v54
	v_fma_f32 v138, 0x3f116cb1, v33, -v56
	v_fmac_f32_e32 v56, 0x3f116cb1, v33
	v_mul_f32_e32 v119, 0xbf7e222b, v46
	v_mul_f32_e32 v46, 0x3f52af12, v46
	v_dual_mul_f32 v50, 0xbf6f5d39, v50 :: v_dual_add_f32 v139, v9, v139
	v_fma_f32 v142, 0xbeb58ec6, v33, -v60
	v_dual_fmamk_f32 v143, v34, 0xbeb58ec6, v61 :: v_dual_fmac_f32 v60, 0xbeb58ec6, v33
	v_fma_f32 v61, 0xbeb58ec6, v34, -v61
	v_mul_f32_e32 v126, 0x3e750f2a, v51
	v_mul_f32_e32 v51, 0xbf6f5d39, v51
	v_fma_f32 v144, 0xbf3f9e67, v33, -v62
	v_dual_fmamk_f32 v145, v34, 0xbf3f9e67, v63 :: v_dual_fmac_f32 v62, 0xbf3f9e67, v33
	v_fma_f32 v63, 0xbf3f9e67, v34, -v63
	v_fma_f32 v146, 0xbf788fa5, v33, -v11
	v_dual_fmamk_f32 v147, v34, 0xbf788fa5, v10 :: v_dual_fmamk_f32 v184, v49, 0xbf788fa5, v131
	v_fmac_f32_e32 v11, 0xbf788fa5, v33
	v_fma_f32 v10, 0xbf788fa5, v34, -v10
	v_dual_fmamk_f32 v34, v36, 0x3f116cb1, v65 :: v_dual_fmamk_f32 v183, v49, 0x3f116cb1, v130
	v_fma_f32 v150, 0xbf788fa5, v35, -v68
	v_fmac_f32_e32 v68, 0xbf788fa5, v35
	v_dual_fmamk_f32 v187, v55, 0xbf788fa5, v134 :: v_dual_add_f32 v58, v8, v58
	v_add_f32_e32 v57, v9, v57
	v_fma_f32 v18, 0x3f62ad3f, v33, -v30
	v_dual_fmac_f32 v30, 0x3f62ad3f, v33 :: v_dual_fmamk_f32 v157, v36, 0x3f62ad3f, v37
	v_dual_add_f32 v12, v16, v12 :: v_dual_add_f32 v13, v17, v13
	v_fma_f32 v33, 0x3f116cb1, v35, -v64
	v_dual_fmac_f32 v64, 0x3f116cb1, v35 :: v_dual_fmamk_f32 v165, v40, 0x3f116cb1, v83
	v_fma_f32 v65, 0x3f116cb1, v36, -v65
	v_fma_f32 v148, 0xbeb58ec6, v35, -v66
	v_dual_fmamk_f32 v149, v36, 0xbeb58ec6, v67 :: v_dual_fmac_f32 v66, 0xbeb58ec6, v35
	v_fma_f32 v67, 0xbeb58ec6, v36, -v67
	v_fmamk_f32 v151, v36, 0xbf788fa5, v69
	v_fma_f32 v69, 0xbf788fa5, v36, -v69
	v_fma_f32 v152, 0xbf3f9e67, v35, -v70
	v_dual_fmamk_f32 v153, v36, 0xbf3f9e67, v71 :: v_dual_fmac_f32 v70, 0xbf3f9e67, v35
	v_fma_f32 v71, 0xbf3f9e67, v36, -v71
	v_fma_f32 v154, 0x3df6dbef, v35, -v72
	v_dual_fmamk_f32 v155, v36, 0x3df6dbef, v73 :: v_dual_fmac_f32 v72, 0x3df6dbef, v35
	v_fma_f32 v73, 0x3df6dbef, v36, -v73
	v_fma_f32 v156, 0x3f62ad3f, v35, -v38
	v_dual_fmac_f32 v38, 0x3f62ad3f, v35 :: v_dual_fmamk_f32 v163, v40, 0x3f62ad3f, v81
	v_fma_f32 v35, 0x3f62ad3f, v36, -v37
	v_fma_f32 v36, 0x3df6dbef, v39, -v74
	v_dual_fmamk_f32 v37, v40, 0x3df6dbef, v75 :: v_dual_fmac_f32 v74, 0x3df6dbef, v39
	v_fma_f32 v75, 0x3df6dbef, v40, -v75
	v_fma_f32 v158, 0xbf788fa5, v39, -v76
	v_dual_fmamk_f32 v159, v40, 0xbf788fa5, v77 :: v_dual_fmac_f32 v76, 0xbf788fa5, v39
	;; [unrolled: 3-line block ×3, first 2 shown]
	v_fma_f32 v79, 0xbeb58ec6, v40, -v79
	v_fma_f32 v162, 0x3f62ad3f, v39, -v80
	v_fmac_f32_e32 v80, 0x3f62ad3f, v39
	v_fma_f32 v81, 0x3f62ad3f, v40, -v81
	v_fma_f32 v164, 0x3f116cb1, v39, -v82
	v_fmac_f32_e32 v82, 0x3f116cb1, v39
	v_fma_f32 v83, 0x3f116cb1, v40, -v83
	v_fma_f32 v166, 0xbf3f9e67, v39, -v42
	v_dual_fmamk_f32 v167, v40, 0xbf3f9e67, v41 :: v_dual_fmac_f32 v42, 0xbf3f9e67, v39
	v_fma_f32 v39, 0xbf3f9e67, v40, -v41
	v_fma_f32 v40, 0xbeb58ec6, v43, -v84
	v_fmac_f32_e32 v84, 0xbeb58ec6, v43
	v_fma_f32 v41, 0xbf3f9e67, v43, -v86
	v_fmac_f32_e32 v86, 0xbf3f9e67, v43
	v_fma_f32 v168, 0x3f62ad3f, v43, -v87
	v_dual_fmac_f32 v87, 0x3f62ad3f, v43 :: v_dual_add_f32 v18, v8, v18
	v_fma_f32 v169, 0x3df6dbef, v43, -v115
	v_fmac_f32_e32 v115, 0x3df6dbef, v43
	v_fma_f32 v170, 0xbf788fa5, v43, -v116
	v_fmac_f32_e32 v116, 0xbf788fa5, v43
	v_fma_f32 v171, 0x3f116cb1, v43, -v47
	v_dual_fmac_f32 v47, 0x3f116cb1, v43 :: v_dual_fmamk_f32 v176, v45, 0x3f116cb1, v46
	v_fmamk_f32 v43, v45, 0xbeb58ec6, v85
	v_fma_f32 v85, 0xbeb58ec6, v45, -v85
	v_fmamk_f32 v172, v45, 0xbf3f9e67, v117
	v_fma_f32 v117, 0xbf3f9e67, v45, -v117
	v_dual_fmamk_f32 v173, v45, 0x3f62ad3f, v118 :: v_dual_add_f32 v30, v8, v30
	v_fma_f32 v118, 0x3f62ad3f, v45, -v118
	v_dual_fmamk_f32 v175, v45, 0xbf788fa5, v120 :: v_dual_add_f32 v138, v8, v138
	v_fma_f32 v120, 0xbf788fa5, v45, -v120
	v_fma_f32 v177, 0x3df6dbef, v48, -v124
	v_fmac_f32_e32 v124, 0x3df6dbef, v48
	v_fma_f32 v178, 0x3f116cb1, v48, -v125
	v_fmac_f32_e32 v125, 0x3f116cb1, v48
	v_fma_f32 v180, 0x3f62ad3f, v48, -v127
	v_fmac_f32_e32 v127, 0x3f62ad3f, v48
	v_fma_f32 v181, 0xbeb58ec6, v48, -v51
	v_dual_fmac_f32 v51, 0xbeb58ec6, v48 :: v_dual_fmamk_f32 v186, v49, 0xbeb58ec6, v50
	v_fma_f32 v130, 0x3f116cb1, v49, -v130
	v_fma_f32 v131, 0xbf788fa5, v49, -v131
	v_dual_fmamk_f32 v185, v49, 0x3f62ad3f, v132 :: v_dual_add_f32 v140, v8, v140
	v_fmamk_f32 v182, v49, 0x3df6dbef, v129
	v_fma_f32 v129, 0x3df6dbef, v49, -v129
	v_fma_f32 v132, 0x3f62ad3f, v49, -v132
	;; [unrolled: 1-line block ×3, first 2 shown]
	v_dual_fmamk_f32 v189, v55, 0x3f62ad3f, v136 :: v_dual_add_f32 v60, v8, v60
	v_dual_fmac_f32 v135, 0x3f62ad3f, v52 :: v_dual_add_f32 v62, v8, v62
	v_add_f32_e32 v56, v8, v56
	v_dual_fmamk_f32 v174, v45, 0x3df6dbef, v119 :: v_dual_add_f32 v17, v148, v138
	v_fma_f32 v119, 0x3df6dbef, v45, -v119
	v_fma_f32 v45, 0x3f116cb1, v45, -v46
	;; [unrolled: 1-line block ×3, first 2 shown]
	v_dual_fmac_f32 v123, 0xbf3f9e67, v48 :: v_dual_add_f32 v142, v8, v142
	v_add_f32_e32 v143, v9, v143
	v_add_f32_e32 v61, v9, v61
	v_fma_f32 v179, 0xbf788fa5, v48, -v126
	v_fmac_f32_e32 v126, 0xbf788fa5, v48
	v_fmamk_f32 v48, v49, 0xbf3f9e67, v128
	v_fma_f32 v128, 0xbf3f9e67, v49, -v128
	v_fma_f32 v49, 0xbeb58ec6, v49, -v50
	;; [unrolled: 1-line block ×3, first 2 shown]
	v_fmac_f32_e32 v133, 0xbf788fa5, v52
	v_dual_add_f32 v144, v8, v144 :: v_dual_add_f32 v145, v9, v145
	v_dual_add_f32 v63, v9, v63 :: v_dual_add_f32 v146, v8, v146
	v_add_f32_e32 v16, v9, v147
	v_dual_add_f32 v8, v8, v11 :: v_dual_add_f32 v9, v9, v10
	v_dual_add_f32 v10, v12, v14 :: v_dual_add_f32 v11, v13, v15
	;; [unrolled: 1-line block ×3, first 2 shown]
	v_add_f32_e32 v63, v73, v63
	v_add_f32_e32 v12, v33, v18
	v_dual_add_f32 v14, v64, v30 :: v_dual_add_f32 v15, v65, v31
	v_dual_add_f32 v18, v149, v139 :: v_dual_add_f32 v19, v66, v56
	;; [unrolled: 1-line block ×4, first 2 shown]
	v_add_f32_e32 v65, v156, v146
	v_dual_add_f32 v57, v152, v142 :: v_dual_add_f32 v58, v153, v143
	v_add_f32_e32 v9, v35, v9
	v_dual_add_f32 v59, v70, v60 :: v_dual_add_f32 v64, v155, v145
	;; [unrolled: 2-line block ×3, first 2 shown]
	v_dual_add_f32 v34, v78, v34 :: v_dual_add_f32 v11, v11, v25
	v_add_f32_e32 v10, v10, v24
	v_dual_add_f32 v60, v71, v61 :: v_dual_add_f32 v19, v76, v19
	v_add_f32_e32 v61, v154, v144
	v_dual_add_f32 v16, v157, v16 :: v_dual_add_f32 v15, v75, v15
	v_dual_add_f32 v8, v38, v8 :: v_dual_add_f32 v33, v161, v33
	;; [unrolled: 1-line block ×4, first 2 shown]
	v_add_f32_e32 v18, v159, v18
	v_add_f32_e32 v30, v77, v30
	v_dual_add_f32 v36, v162, v57 :: v_dual_add_f32 v37, v163, v58
	v_dual_add_f32 v38, v80, v59 :: v_dual_add_f32 v59, v82, v62
	;; [unrolled: 1-line block ×6, first 2 shown]
	v_add_f32_e32 v17, v41, v17
	v_dual_add_f32 v61, v166, v65 :: v_dual_add_f32 v16, v167, v16
	v_dual_add_f32 v15, v85, v15 :: v_dual_add_f32 v8, v42, v8
	v_add_f32_e32 v25, v168, v31
	v_dual_add_f32 v12, v40, v12 :: v_dual_add_f32 v19, v86, v19
	v_add_f32_e32 v14, v84, v14
	v_add_f32_e32 v18, v172, v18
	v_dual_add_f32 v24, v117, v30 :: v_dual_add_f32 v39, v120, v60
	v_dual_add_f32 v26, v173, v33 :: v_dual_add_f32 v27, v87, v34
	v_dual_add_f32 v30, v118, v35 :: v_dual_add_f32 v31, v169, v36
	v_add_f32_e32 v33, v174, v37
	v_add_f32_e32 v37, v175, v58
	v_dual_add_f32 v34, v115, v38 :: v_dual_add_f32 v9, v45, v9
	v_dual_add_f32 v38, v116, v59 :: v_dual_add_f32 v5, v11, v5
	v_add_f32_e32 v4, v10, v4
	v_dual_add_f32 v35, v119, v56 :: v_dual_add_f32 v36, v170, v57
	v_add_f32_e32 v40, v171, v61
	;; [unrolled: 2-line block ×3, first 2 shown]
	v_dual_add_f32 v12, v123, v14 :: v_dual_add_f32 v13, v128, v15
	v_dual_add_f32 v14, v177, v17 :: v_dual_add_f32 v15, v182, v18
	;; [unrolled: 1-line block ×3, first 2 shown]
	v_add_f32_e32 v24, v183, v26
	v_add_f32_e32 v26, v130, v30
	v_dual_add_f32 v30, v184, v33 :: v_dual_add_f32 v5, v5, v7
	v_add_f32_e32 v4, v4, v6
	v_fma_f32 v134, 0xbf788fa5, v55, -v134
	v_dual_add_f32 v16, v176, v16 :: v_dual_add_f32 v19, v178, v25
	s_delay_alu instid0(VALU_DEP_3) | instskip(NEXT) | instid1(VALU_DEP_3)
	v_dual_add_f32 v5, v5, v1 :: v_dual_add_f32 v4, v4, v0
	v_add_f32_e32 v65, v134, v13
	v_add_f32_e32 v25, v125, v27
	;; [unrolled: 1-line block ×3, first 2 shown]
	v_dual_add_f32 v31, v126, v34 :: v_dual_add_f32 v34, v180, v36
	v_dual_add_f32 v41, v49, v9 :: v_dual_add_f32 v36, v127, v38
	;; [unrolled: 1-line block ×5, first 2 shown]
	v_add_f32_e32 v35, v185, v37
	v_dual_add_f32 v64, v133, v12 :: v_dual_mul_f32 v9, 0xbf29c268, v54
	s_delay_alu instid0(VALU_DEP_3)
	v_dual_add_f32 v5, v5, v21 :: v_dual_add_f32 v4, v4, v20
	v_mul_f32_e32 v13, 0x3f52af12, v54
	v_fma_f32 v136, 0x3f62ad3f, v55, -v136
	v_add_f32_e32 v37, v132, v39
	v_add_f32_e32 v39, v186, v16
	v_dual_add_f32 v0, v50, v10 :: v_dual_add_f32 v3, v189, v15
	v_add_f32_e32 v2, v188, v14
	v_fma_f32 v8, 0xbf3f9e67, v52, -v137
	v_fmac_f32_e32 v137, 0xbf3f9e67, v52
	v_fmamk_f32 v15, v55, 0x3f116cb1, v13
	v_fma_f32 v16, 0x3f116cb1, v55, -v13
	v_fmamk_f32 v10, v55, 0xbf3f9e67, v9
	v_dual_add_f32 v6, v135, v17 :: v_dual_add_f32 v7, v136, v18
	v_fma_f32 v11, 0xbf3f9e67, v55, -v9
	v_dual_mul_f32 v18, 0xbf6f5d39, v53 :: v_dual_add_f32 v13, v15, v30
	v_mul_f32_e32 v17, 0xbf6f5d39, v54
	v_add_f32_e32 v15, v16, v33
	v_dual_mul_f32 v14, 0x3f52af12, v53 :: v_dual_add_f32 v9, v10, v24
	v_add_f32_e32 v10, v137, v25
	v_dual_add_f32 v8, v8, v19 :: v_dual_add_f32 v11, v11, v26
	v_fma_f32 v19, 0xbeb58ec6, v52, -v18
	v_fmamk_f32 v20, v55, 0xbeb58ec6, v17
	v_mul_lo_u16 v21, v44, 13
	v_fma_f32 v12, 0x3f116cb1, v52, -v14
	v_mul_f32_e32 v24, 0x3f7e222b, v53
	v_add_f32_e32 v16, v19, v34
	v_fma_f32 v19, 0xbeb58ec6, v55, -v17
	v_dual_add_f32 v17, v20, v35 :: v_dual_mul_f32 v20, 0x3f7e222b, v54
	v_and_b32_e32 v30, 0xffff, v21
	s_delay_alu instid0(VALU_DEP_3)
	v_dual_add_f32 v12, v12, v27 :: v_dual_add_f32 v19, v19, v37
	v_fmac_f32_e32 v14, 0x3f116cb1, v52
	v_fma_f32 v25, 0x3df6dbef, v52, -v24
	v_fmamk_f32 v26, v55, 0x3df6dbef, v20
	v_fmac_f32_e32 v24, 0x3df6dbef, v52
	v_fma_f32 v27, 0x3df6dbef, v55, -v20
	v_fmac_f32_e32 v18, 0xbeb58ec6, v52
	v_lshlrev_b32_e32 v76, 3, v30
	v_add_f32_e32 v14, v14, v31
	s_delay_alu instid0(VALU_DEP_4)
	v_dual_add_f32 v20, v25, v38 :: v_dual_add_f32 v25, v27, v41
	v_dual_add_f32 v21, v26, v39 :: v_dual_add_f32 v24, v24, v40
	v_add_f32_e32 v18, v18, v36
	ds_store_2addr_b64 v76, v[4:5], v[0:1] offset1:1
	ds_store_2addr_b64 v76, v[2:3], v[8:9] offset0:2 offset1:3
	ds_store_2addr_b64 v76, v[12:13], v[16:17] offset0:4 offset1:5
	;; [unrolled: 1-line block ×5, first 2 shown]
	ds_store_b64 v76, v[64:65] offset:96
	global_wb scope:SCOPE_SE
	s_wait_dscnt 0x0
	s_barrier_signal -1
	s_barrier_wait -1
	global_inv scope:SCOPE_SE
	ds_load_2addr_b64 v[24:27], v121 offset1:117
	ds_load_2addr_b64 v[36:39], v23 offset0:123 offset1:240
	ds_load_2addr_b64 v[40:43], v29 offset0:118 offset1:235
	;; [unrolled: 1-line block ×5, first 2 shown]
                                        ; implicit-def: $vgpr44
                                        ; implicit-def: $vgpr46
	s_and_saveexec_b32 s2, vcc_lo
	s_cbranch_execz .LBB0_3
; %bb.2:
	ds_load_b64 v[64:65], v121 offset:3744
	ds_load_b64 v[44:45], v121 offset:7800
	;; [unrolled: 1-line block ×3, first 2 shown]
.LBB0_3:
	s_wait_alu 0xfffe
	s_or_b32 exec_lo, exec_lo, s2
	v_and_b32_e32 v0, 0xff, v122
	v_add_nc_u16 v52, v122, 0x75
	v_add_co_u32 v54, null, 0xea, v122
	v_add_co_u32 v53, null, 0x15f, v122
	s_delay_alu instid0(VALU_DEP_4) | instskip(NEXT) | instid1(VALU_DEP_4)
	v_mul_lo_u16 v0, 0x4f, v0
	v_and_b32_e32 v55, 0xff, v52
	s_delay_alu instid0(VALU_DEP_4) | instskip(NEXT) | instid1(VALU_DEP_4)
	v_and_b32_e32 v74, 0xffff, v54
	v_and_b32_e32 v75, 0xffff, v53
	v_add_nc_u16 v72, v122, 0x1d4
	v_lshrrev_b16 v48, 10, v0
	v_mul_lo_u16 v0, 0x4f, v55
	v_mul_u32_u24_e32 v2, 0x4ec5, v74
	s_delay_alu instid0(VALU_DEP_3) | instskip(NEXT) | instid1(VALU_DEP_3)
	v_mul_lo_u16 v1, v48, 13
	v_lshrrev_b16 v49, 10, v0
	s_delay_alu instid0(VALU_DEP_3) | instskip(SKIP_1) | instid1(VALU_DEP_4)
	v_lshrrev_b32_e32 v50, 18, v2
	v_and_b32_e32 v48, 0xffff, v48
	v_sub_nc_u16 v0, v122, v1
	v_mul_u32_u24_e32 v1, 0x4ec5, v75
	v_mul_lo_u16 v2, v49, 13
	s_delay_alu instid0(VALU_DEP_4) | instskip(NEXT) | instid1(VALU_DEP_4)
	v_mul_u32_u24_e32 v48, 39, v48
	v_and_b32_e32 v51, 0xff, v0
	v_mul_lo_u16 v0, v50, 13
	v_lshrrev_b32_e32 v56, 18, v1
	v_sub_nc_u16 v1, v52, v2
	s_delay_alu instid0(VALU_DEP_4) | instskip(NEXT) | instid1(VALU_DEP_4)
	v_lshlrev_b32_e32 v2, 4, v51
	v_sub_nc_u16 v57, v54, v0
	v_add_lshl_u32 v128, v48, v51, 3
	global_load_b128 v[16:19], v2, s[10:11]
	v_and_b32_e32 v58, 0xff, v1
	v_lshlrev_b16 v1, 1, v57
	v_mad_u16 v50, v50, 39, v57
	s_delay_alu instid0(VALU_DEP_2) | instskip(NEXT) | instid1(VALU_DEP_2)
	v_and_b32_e32 v1, 0xffff, v1
	v_and_b32_e32 v50, 0xffff, v50
	s_delay_alu instid0(VALU_DEP_2) | instskip(NEXT) | instid1(VALU_DEP_2)
	v_lshlrev_b32_e32 v1, 3, v1
	v_lshlrev_b32_e32 v126, 3, v50
	global_load_b128 v[8:11], v1, s[10:11]
	s_wait_loadcnt_dscnt 0x103
	v_mul_f32_e32 v51, v40, v19
	v_mul_f32_e32 v50, v41, v19
	;; [unrolled: 1-line block ×3, first 2 shown]
	s_delay_alu instid0(VALU_DEP_3)
	v_fmac_f32_e32 v51, v41, v18
	s_wait_loadcnt_dscnt 0x1
	v_dual_mul_f32 v41, v28, v9 :: v_dual_lshlrev_b32 v2, 4, v58
	global_load_b128 v[12:15], v2, s[10:11]
	v_and_b32_e32 v49, 0xffff, v49
	v_and_b32_e32 v73, 0xffff, v72
	v_fmac_f32_e32 v41, v29, v8
	s_delay_alu instid0(VALU_DEP_3) | instskip(NEXT) | instid1(VALU_DEP_1)
	v_mul_u32_u24_e32 v49, 39, v49
	v_add_lshl_u32 v127, v49, v58, 3
	v_mul_f32_e32 v49, v36, v17
	v_fma_f32 v36, v36, v16, -v48
	s_delay_alu instid0(VALU_DEP_2) | instskip(SKIP_1) | instid1(VALU_DEP_2)
	v_fmac_f32_e32 v49, v37, v16
	v_fma_f32 v37, v40, v18, -v50
	v_add_f32_e32 v69, v25, v49
	s_delay_alu instid0(VALU_DEP_2)
	v_add_f32_e32 v67, v36, v37
	s_wait_loadcnt 0x0
	v_mul_f32_e32 v40, v39, v13
	v_mul_u32_u24_e32 v3, 0x4ec5, v73
	v_mul_f32_e32 v48, v38, v13
	v_mul_f32_e32 v50, v43, v15
	s_delay_alu instid0(VALU_DEP_4) | instskip(NEXT) | instid1(VALU_DEP_4)
	v_fma_f32 v38, v38, v12, -v40
	v_lshrrev_b32_e32 v123, 18, v3
	v_mul_lo_u16 v3, v56, 13
	v_fmac_f32_e32 v48, v39, v12
	v_fma_f32 v39, v42, v14, -v50
	v_mul_f32_e32 v40, v29, v9
	v_mul_lo_u16 v0, v123, 13
	v_sub_nc_u16 v59, v53, v3
	v_add_f32_e32 v29, v69, v51
	s_delay_alu instid0(VALU_DEP_4) | instskip(NEXT) | instid1(VALU_DEP_4)
	v_fma_f32 v40, v28, v8, -v40
	v_sub_nc_u16 v124, v72, v0
	s_delay_alu instid0(VALU_DEP_4) | instskip(SKIP_1) | instid1(VALU_DEP_3)
	v_mad_u16 v56, v56, 39, v59
	v_lshlrev_b16 v0, 1, v59
	v_lshlrev_b16 v2, 1, v124
	s_delay_alu instid0(VALU_DEP_3) | instskip(NEXT) | instid1(VALU_DEP_3)
	v_and_b32_e32 v56, 0xffff, v56
	v_and_b32_e32 v0, 0xffff, v0
	s_delay_alu instid0(VALU_DEP_3) | instskip(NEXT) | instid1(VALU_DEP_3)
	v_and_b32_e32 v2, 0xffff, v2
	v_dual_mul_f32 v56, v42, v15 :: v_dual_lshlrev_b32 v125, 3, v56
	s_delay_alu instid0(VALU_DEP_2) | instskip(SKIP_1) | instid1(VALU_DEP_2)
	v_lshlrev_b32_e32 v1, 3, v2
	s_wait_dscnt 0x0
	v_dual_fmac_f32 v56, v43, v14 :: v_dual_mul_f32 v43, v32, v11
	v_lshlrev_b32_e32 v0, 3, v0
	s_clause 0x1
	global_load_b128 v[4:7], v0, s[10:11]
	global_load_b128 v[0:3], v1, s[10:11]
	v_sub_f32_e32 v68, v49, v51
	v_add_f32_e32 v49, v49, v51
	v_fmac_f32_e32 v43, v33, v10
	global_wb scope:SCOPE_SE
	s_wait_loadcnt 0x0
	s_barrier_signal -1
	s_barrier_wait -1
	v_fma_f32 v25, -0.5, v49, v25
	global_inv scope:SCOPE_SE
	v_mul_f32_e32 v50, v31, v5
	v_dual_mul_f32 v57, v30, v5 :: v_dual_mul_f32 v42, v33, v11
	v_mul_f32_e32 v58, v35, v7
	v_dual_mul_f32 v59, v34, v7 :: v_dual_mul_f32 v60, v45, v1
	v_dual_mul_f32 v61, v44, v1 :: v_dual_mul_f32 v62, v47, v3
	v_dual_mul_f32 v63, v46, v3 :: v_dual_add_f32 v66, v24, v36
	s_delay_alu instid0(VALU_DEP_2)
	v_dual_sub_f32 v36, v36, v37 :: v_dual_fmac_f32 v61, v45, v0
	v_fma_f32 v50, v30, v4, -v50
	v_fmac_f32_e32 v57, v31, v4
	v_fma_f32 v42, v32, v10, -v42
	v_fma_f32 v58, v34, v6, -v58
	v_fmac_f32_e32 v59, v35, v6
	v_fma_f32 v34, v44, v0, -v60
	v_fma_f32 v44, v46, v2, -v62
	v_dual_fmac_f32 v63, v47, v2 :: v_dual_add_f32 v28, v66, v37
	v_fma_f32 v24, -0.5, v67, v24
	v_dual_add_f32 v32, v26, v38 :: v_dual_add_f32 v37, v27, v48
	v_sub_f32_e32 v35, v48, v56
	s_delay_alu instid0(VALU_DEP_3) | instskip(SKIP_3) | instid1(VALU_DEP_4)
	v_dual_add_f32 v33, v38, v39 :: v_dual_fmamk_f32 v30, v68, 0x3f5db3d7, v24
	v_dual_add_f32 v45, v48, v56 :: v_dual_sub_f32 v38, v38, v39
	v_dual_fmac_f32 v24, 0xbf5db3d7, v68 :: v_dual_fmamk_f32 v31, v36, 0xbf5db3d7, v25
	v_dual_fmac_f32 v25, 0x3f5db3d7, v36 :: v_dual_add_f32 v32, v32, v39
	v_fma_f32 v26, -0.5, v33, v26
	v_add_f32_e32 v33, v37, v56
	v_dual_fmac_f32 v27, -0.5, v45 :: v_dual_add_f32 v36, v20, v40
	v_dual_add_f32 v37, v40, v42 :: v_dual_sub_f32 v48, v57, v59
	v_dual_sub_f32 v45, v41, v43 :: v_dual_add_f32 v46, v22, v50
	v_add_f32_e32 v39, v21, v41
	v_dual_add_f32 v41, v41, v43 :: v_dual_add_f32 v56, v64, v34
	v_dual_add_f32 v47, v50, v58 :: v_dual_sub_f32 v60, v61, v63
	v_dual_add_f32 v49, v23, v57 :: v_dual_sub_f32 v68, v34, v44
	v_add_f32_e32 v51, v57, v59
	v_dual_add_f32 v57, v34, v44 :: v_dual_add_f32 v62, v65, v61
	v_dual_add_f32 v61, v61, v63 :: v_dual_add_f32 v36, v36, v42
	v_sub_f32_e32 v40, v40, v42
	v_sub_f32_e32 v50, v50, v58
	v_fmamk_f32 v34, v35, 0x3f5db3d7, v26
	v_fma_f32 v20, -0.5, v37, v20
	v_add_f32_e32 v37, v39, v43
	v_fma_f32 v21, -0.5, v41, v21
	v_fma_f32 v22, -0.5, v47, v22
	v_dual_add_f32 v39, v49, v59 :: v_dual_fmac_f32 v64, -0.5, v57
	v_fmac_f32_e32 v23, -0.5, v51
	v_dual_fmac_f32 v65, -0.5, v61 :: v_dual_fmac_f32 v26, 0xbf5db3d7, v35
	v_fmamk_f32 v35, v38, 0xbf5db3d7, v27
	v_dual_fmac_f32 v27, 0x3f5db3d7, v38 :: v_dual_add_f32 v66, v56, v44
	v_add_f32_e32 v67, v62, v63
	ds_store_2addr_b64 v128, v[28:29], v[30:31] offset1:13
	ds_store_b64 v128, v[24:25] offset:208
	v_fmamk_f32 v24, v45, 0x3f5db3d7, v20
	v_dual_fmac_f32 v20, 0xbf5db3d7, v45 :: v_dual_fmamk_f32 v25, v40, 0xbf5db3d7, v21
	v_dual_fmac_f32 v21, 0x3f5db3d7, v40 :: v_dual_fmamk_f32 v70, v60, 0x3f5db3d7, v64
	v_fmamk_f32 v28, v48, 0x3f5db3d7, v22
	v_dual_fmamk_f32 v29, v50, 0xbf5db3d7, v23 :: v_dual_fmac_f32 v64, 0xbf5db3d7, v60
	v_fmamk_f32 v71, v68, 0xbf5db3d7, v65
	v_dual_fmac_f32 v65, 0x3f5db3d7, v68 :: v_dual_add_f32 v38, v46, v58
	v_fmac_f32_e32 v22, 0xbf5db3d7, v48
	v_fmac_f32_e32 v23, 0x3f5db3d7, v50
	ds_store_2addr_b64 v127, v[32:33], v[34:35] offset1:13
	ds_store_b64 v127, v[26:27] offset:208
	ds_store_2addr_b64 v126, v[36:37], v[24:25] offset1:13
	ds_store_b64 v126, v[20:21] offset:208
	;; [unrolled: 2-line block ×3, first 2 shown]
	s_and_saveexec_b32 s2, vcc_lo
	s_cbranch_execz .LBB0_5
; %bb.4:
	v_mad_u16 v20, v123, 39, v124
	s_delay_alu instid0(VALU_DEP_1) | instskip(NEXT) | instid1(VALU_DEP_1)
	v_and_b32_e32 v20, 0xffff, v20
	v_lshlrev_b32_e32 v20, 3, v20
	ds_store_2addr_b64 v20, v[66:67], v[70:71] offset1:13
	ds_store_b64 v20, v[64:65] offset:208
.LBB0_5:
	s_wait_alu 0xfffe
	s_or_b32 exec_lo, exec_lo, s2
	v_add_nc_u32_e32 v20, 0xc00, v121
	v_add_nc_u32_e32 v21, 0x1c00, v121
	;; [unrolled: 1-line block ×5, first 2 shown]
	global_wb scope:SCOPE_SE
	s_wait_dscnt 0x0
	s_barrier_signal -1
	s_barrier_wait -1
	global_inv scope:SCOPE_SE
	ds_load_2addr_b64 v[32:35], v121 offset1:117
	ds_load_2addr_b64 v[48:51], v20 offset0:123 offset1:240
	ds_load_2addr_b64 v[40:43], v21 offset0:118 offset1:235
	;; [unrolled: 1-line block ×5, first 2 shown]
	v_add_co_u32 v68, s2, s8, v121
	s_wait_alu 0xf1ff
	v_add_co_ci_u32_e64 v69, null, s9, 0, s2
	s_and_saveexec_b32 s2, vcc_lo
	s_cbranch_execz .LBB0_7
; %bb.6:
	ds_load_b64 v[66:67], v121 offset:3744
	ds_load_b64 v[70:71], v121 offset:7800
	ds_load_b64 v[64:65], v121 offset:11856
.LBB0_7:
	s_wait_alu 0xfffe
	s_or_b32 exec_lo, exec_lo, s2
	v_mul_u32_u24_e32 v20, 0xa41b, v74
	v_and_b32_e32 v21, 0xff, v122
	v_mul_u32_u24_e32 v22, 0xa41b, v75
	v_mul_u32_u24_e32 v23, 0xa41b, v73
	v_mul_lo_u16 v25, 0xa5, v55
	v_lshrrev_b32_e32 v20, 16, v20
	v_mul_lo_u16 v21, 0xa5, v21
	v_lshrrev_b32_e32 v22, 16, v22
	v_lshrrev_b32_e32 v23, 16, v23
	v_lshrrev_b16 v25, 8, v25
	v_sub_nc_u16 v24, v54, v20
	v_lshrrev_b16 v21, 8, v21
	v_sub_nc_u16 v26, v53, v22
	v_sub_nc_u16 v27, v72, v23
	;; [unrolled: 1-line block ×3, first 2 shown]
	v_lshrrev_b16 v24, 1, v24
	s_delay_alu instid0(VALU_DEP_4) | instskip(NEXT) | instid1(VALU_DEP_4)
	v_lshrrev_b16 v26, 1, v26
	v_lshrrev_b16 v27, 1, v27
	s_delay_alu instid0(VALU_DEP_3) | instskip(SKIP_1) | instid1(VALU_DEP_4)
	v_add_nc_u16 v20, v24, v20
	v_sub_nc_u16 v24, v122, v21
	v_add_nc_u16 v22, v26, v22
	s_delay_alu instid0(VALU_DEP_4) | instskip(NEXT) | instid1(VALU_DEP_4)
	v_add_nc_u16 v23, v27, v23
	v_lshrrev_b16 v73, 5, v20
	s_delay_alu instid0(VALU_DEP_4)
	v_lshrrev_b16 v20, 1, v24
	v_lshrrev_b16 v24, 1, v28
	;; [unrolled: 1-line block ×4, first 2 shown]
	v_mul_lo_u16 v26, v73, 39
	v_and_b32_e32 v20, 0x7f, v20
	v_and_b32_e32 v23, 0x7f, v24
	s_delay_alu instid0(VALU_DEP_4) | instskip(NEXT) | instid1(VALU_DEP_4)
	v_mul_lo_u16 v22, v22, 39
	v_sub_nc_u16 v75, v54, v26
	s_delay_alu instid0(VALU_DEP_4)
	v_add_nc_u16 v20, v20, v21
	v_mul_lo_u16 v21, v74, 39
	v_add_nc_u16 v23, v23, v25
	v_sub_nc_u16 v72, v72, v22
	v_lshlrev_b16 v24, 4, v75
	v_lshrrev_b16 v20, 5, v20
	v_sub_nc_u16 v77, v53, v21
	v_lshrrev_b16 v22, 5, v23
	v_mad_u16 v73, 0x75, v73, v75
	v_and_b32_e32 v21, 0xffff, v24
	v_and_b32_e32 v78, 7, v20
	v_lshlrev_b16 v23, 4, v77
	v_and_b32_e32 v79, 7, v22
	v_lshlrev_b16 v24, 4, v72
	v_add_co_u32 v20, s2, s10, v21
	s_wait_alu 0xf1ff
	v_add_co_ci_u32_e64 v21, null, s11, 0, s2
	v_and_b32_e32 v22, 0xffff, v23
	v_mul_lo_u16 v44, v78, 39
	v_mad_u16 v74, 0x75, v74, v77
	global_load_b128 v[28:31], v[20:21], off offset:208
	v_and_b32_e32 v77, 0xffff, v78
	v_add_co_u32 v20, s2, s10, v22
	s_wait_alu 0xf1ff
	v_add_co_ci_u32_e64 v21, null, s11, 0, s2
	v_sub_nc_u16 v44, v122, v44
	v_mul_u32_u24_e32 v77, 0x75, v77
	s_wait_loadcnt_dscnt 0x0
	v_dual_mul_f32 v78, v56, v31 :: v_dual_and_b32 v23, 0xffff, v24
	global_load_b128 v[24:27], v[20:21], off offset:208
	v_and_b32_e32 v80, 0xff, v44
	v_fmac_f32_e32 v78, v57, v30
	v_add_co_u32 v22, s2, s10, v23
	s_wait_alu 0xf1ff
	v_add_co_ci_u32_e64 v23, null, s11, 0, s2
	global_load_b128 v[20:23], v[22:23], off offset:208
	v_and_b32_e32 v129, 0xffff, v72
	v_and_b32_e32 v74, 0xffff, v74
	s_wait_loadcnt 0x1
	v_mul_f32_e32 v82, v58, v27
	v_mul_lo_u16 v45, v79, 39
	v_and_b32_e32 v75, 0xffff, v79
	v_and_b32_e32 v73, 0xffff, v73
	v_mul_f32_e32 v79, v63, v25
	v_fmac_f32_e32 v82, v59, v26
	v_sub_nc_u16 v45, v52, v45
	v_mul_u32_u24_e32 v75, 0x75, v75
	s_wait_loadcnt 0x0
	s_delay_alu instid0(VALU_DEP_2) | instskip(SKIP_1) | instid1(VALU_DEP_2)
	v_dual_mul_f32 v84, v65, v23 :: v_dual_and_b32 v81, 0xff, v45
	v_dual_mul_f32 v83, v71, v21 :: v_dual_mul_f32 v72, v64, v23
	v_lshlrev_b32_e32 v45, 4, v81
	v_add_lshl_u32 v132, v75, v81, 3
	v_dual_mul_f32 v81, v59, v27 :: v_dual_lshlrev_b32 v44, 4, v80
	s_clause 0x1
	global_load_b128 v[52:55], v44, s[10:11] offset:208
	global_load_b128 v[44:47], v45, s[10:11] offset:208
	v_lshlrev_b32_e32 v131, 3, v73
	v_add_lshl_u32 v133, v77, v80, 3
	v_mul_f32_e32 v75, v60, v29
	v_mul_f32_e32 v77, v57, v31
	v_dual_mul_f32 v73, v70, v21 :: v_dual_lshlrev_b32 v130, 3, v74
	v_mul_f32_e32 v74, v61, v29
	s_delay_alu instid0(VALU_DEP_4) | instskip(NEXT) | instid1(VALU_DEP_4)
	v_dual_fmac_f32 v75, v61, v28 :: v_dual_mul_f32 v80, v62, v25
	v_fma_f32 v61, v56, v30, -v77
	v_fma_f32 v62, v62, v24, -v79
	s_delay_alu instid0(VALU_DEP_4)
	v_fma_f32 v60, v60, v28, -v74
	v_fma_f32 v58, v58, v26, -v81
	v_fmac_f32_e32 v80, v63, v24
	v_fma_f32 v57, v70, v20, -v83
	v_fmac_f32_e32 v73, v71, v20
	v_fma_f32 v56, v64, v22, -v84
	v_add_f32_e32 v84, v37, v75
	v_dual_fmac_f32 v72, v65, v22 :: v_dual_add_f32 v81, v60, v61
	v_sub_f32_e32 v83, v75, v78
	v_add_f32_e32 v85, v38, v62
	v_add_f32_e32 v79, v36, v60
	;; [unrolled: 1-line block ×3, first 2 shown]
	v_sub_f32_e32 v118, v73, v72
	v_fma_f32 v36, -0.5, v81, v36
	global_wb scope:SCOPE_SE
	s_wait_loadcnt 0x0
	s_barrier_signal -1
	s_barrier_wait -1
	global_inv scope:SCOPE_SE
	v_add_f32_e32 v86, v62, v58
	v_sub_f32_e32 v62, v62, v58
	v_sub_f32_e32 v60, v60, v61
	s_delay_alu instid0(VALU_DEP_3)
	v_fma_f32 v38, -0.5, v86, v38
	v_mul_f32_e32 v59, v49, v53
	v_dual_mul_f32 v63, v48, v53 :: v_dual_mul_f32 v64, v41, v55
	v_dual_mul_f32 v65, v40, v55 :: v_dual_mul_f32 v70, v51, v45
	;; [unrolled: 1-line block ×3, first 2 shown]
	v_mul_f32_e32 v77, v42, v47
	v_fma_f32 v48, v48, v52, -v59
	v_add_f32_e32 v75, v75, v78
	v_fmac_f32_e32 v63, v49, v52
	v_fma_f32 v59, v40, v54, -v64
	v_fmac_f32_e32 v65, v41, v54
	v_fma_f32 v49, v50, v44, -v70
	v_add_f32_e32 v117, v73, v72
	v_fma_f32 v64, v42, v46, -v74
	v_fmac_f32_e32 v77, v43, v46
	v_add_f32_e32 v42, v85, v58
	v_add_f32_e32 v40, v79, v61
	;; [unrolled: 1-line block ×3, first 2 shown]
	v_fma_f32 v37, -0.5, v75, v37
	v_add_f32_e32 v61, v48, v59
	v_dual_sub_f32 v75, v48, v59 :: v_dual_fmamk_f32 v48, v83, 0x3f5db3d7, v36
	v_dual_add_f32 v115, v39, v80 :: v_dual_add_f32 v74, v33, v63
	v_dual_fmac_f32 v36, 0xbf5db3d7, v83 :: v_dual_sub_f32 v87, v80, v82
	v_sub_f32_e32 v70, v63, v65
	v_dual_add_f32 v80, v80, v82 :: v_dual_fmac_f32 v71, v51, v44
	s_delay_alu instid0(VALU_DEP_3)
	v_dual_add_f32 v41, v84, v78 :: v_dual_fmamk_f32 v50, v87, 0x3f5db3d7, v38
	v_dual_add_f32 v78, v34, v49 :: v_dual_add_f32 v43, v115, v82
	v_add_f32_e32 v58, v58, v59
	v_fma_f32 v115, -0.5, v116, v66
	v_fma_f32 v116, -0.5, v117, v67
	v_sub_f32_e32 v82, v49, v64
	v_dual_fmac_f32 v38, 0xbf5db3d7, v87 :: v_dual_sub_f32 v119, v57, v56
	v_dual_fmac_f32 v39, -0.5, v80 :: v_dual_sub_f32 v80, v71, v77
	v_add_f32_e32 v79, v49, v64
	v_fmamk_f32 v49, v60, 0xbf5db3d7, v37
	v_fmac_f32_e32 v37, 0x3f5db3d7, v60
	v_add_f32_e32 v60, v78, v64
	v_fma_f32 v32, -0.5, v61, v32
	v_add_f32_e32 v63, v63, v65
	v_fma_f32 v34, -0.5, v79, v34
	v_add_f32_e32 v81, v35, v71
	v_add_f32_e32 v71, v71, v77
	v_fmamk_f32 v117, v118, 0x3f5db3d7, v115
	v_dual_fmac_f32 v115, 0xbf5db3d7, v118 :: v_dual_fmamk_f32 v118, v119, 0xbf5db3d7, v116
	v_fmac_f32_e32 v116, 0x3f5db3d7, v119
	v_fmamk_f32 v51, v62, 0xbf5db3d7, v39
	v_dual_fmac_f32 v39, 0x3f5db3d7, v62 :: v_dual_fmamk_f32 v62, v70, 0x3f5db3d7, v32
	v_fma_f32 v33, -0.5, v63, v33
	v_fmac_f32_e32 v35, -0.5, v71
	v_dual_add_f32 v59, v74, v65 :: v_dual_fmac_f32 v32, 0xbf5db3d7, v70
	v_fmamk_f32 v64, v80, 0x3f5db3d7, v34
	s_delay_alu instid0(VALU_DEP_4)
	v_fmamk_f32 v63, v75, 0xbf5db3d7, v33
	v_fmac_f32_e32 v33, 0x3f5db3d7, v75
	v_dual_fmac_f32 v34, 0xbf5db3d7, v80 :: v_dual_add_f32 v61, v81, v77
	v_fmamk_f32 v65, v82, 0xbf5db3d7, v35
	v_fmac_f32_e32 v35, 0x3f5db3d7, v82
	ds_store_2addr_b64 v133, v[58:59], v[62:63] offset1:39
	ds_store_b64 v133, v[32:33] offset:624
	ds_store_2addr_b64 v132, v[60:61], v[64:65] offset1:39
	ds_store_b64 v132, v[34:35] offset:624
	;; [unrolled: 2-line block ×4, first 2 shown]
	s_and_saveexec_b32 s2, vcc_lo
	s_cbranch_execz .LBB0_9
; %bb.8:
	v_add_f32_e32 v32, v67, v73
	v_add_f32_e32 v34, v66, v57
	v_lshlrev_b32_e32 v35, 3, v129
	s_delay_alu instid0(VALU_DEP_3) | instskip(NEXT) | instid1(VALU_DEP_3)
	v_add_f32_e32 v33, v32, v72
	v_add_f32_e32 v32, v34, v56
	s_delay_alu instid0(VALU_DEP_3)
	v_add_nc_u32_e32 v34, 0x2800, v35
	ds_store_2addr_b64 v34, v[32:33], v[117:118] offset0:124 offset1:163
	ds_store_b64 v35, v[115:116] offset:11856
.LBB0_9:
	s_wait_alu 0xfffe
	s_or_b32 exec_lo, exec_lo, s2
	v_mad_co_u64_u32 v[36:37], null, 0x60, v122, s[10:11]
	global_wb scope:SCOPE_SE
	s_wait_dscnt 0x0
	s_barrier_signal -1
	s_barrier_wait -1
	global_inv scope:SCOPE_SE
	s_add_nc_u64 s[2:3], s[8:9], 0x2f88
	s_clause 0x5
	global_load_b128 v[60:63], v[36:37], off offset:832
	global_load_b128 v[56:59], v[36:37], off offset:848
	;; [unrolled: 1-line block ×6, first 2 shown]
	v_add_nc_u32_e32 v77, 0x400, v121
	ds_load_2addr_b64 v[64:67], v121 offset1:117
	ds_load_2addr_b64 v[82:85], v77 offset0:106 offset1:223
	s_wait_loadcnt_dscnt 0x500
	v_dual_mul_f32 v154, v82, v63 :: v_dual_add_nc_u32 v79, 0xc00, v121
	ds_load_2addr_b64 v[135:138], v79 offset0:84 offset1:201
	v_add_nc_u32_e32 v78, 0x1400, v121
	v_add_nc_u32_e32 v80, 0x1c00, v121
	s_wait_loadcnt 0x4
	v_dual_mul_f32 v120, v83, v63 :: v_dual_mul_f32 v155, v85, v57
	v_fmac_f32_e32 v154, v83, v62
	s_delay_alu instid0(VALU_DEP_2) | instskip(NEXT) | instid1(VALU_DEP_3)
	v_fma_f32 v167, v82, v62, -v120
	v_fma_f32 v155, v84, v56, -v155
	s_wait_dscnt 0x0
	v_mul_f32_e32 v157, v136, v59
	ds_load_2addr_b64 v[139:142], v78 offset0:62 offset1:179
	v_dual_mul_f32 v119, v135, v59 :: v_dual_add_nc_u32 v134, 0x2400, v121
	ds_load_2addr_b64 v[143:146], v80 offset0:40 offset1:157
	v_mul_f32_e32 v86, v67, v61
	v_mul_f32_e32 v153, v66, v61
	;; [unrolled: 1-line block ×3, first 2 shown]
	v_fma_f32 v135, v135, v58, -v157
	v_fmac_f32_e32 v119, v136, v58
	s_wait_loadcnt_dscnt 0x301
	v_mul_f32_e32 v159, v140, v43
	ds_load_2addr_b64 v[147:150], v134 offset0:18 offset1:135
	ds_load_b64 v[151:152], v121 offset:11232
	v_mul_f32_e32 v70, v139, v43
	s_wait_loadcnt_dscnt 0x102
	v_dual_mul_f32 v81, v143, v35 :: v_dual_mul_f32 v72, v145, v49
	v_mul_f32_e32 v158, v138, v41
	s_delay_alu instid0(VALU_DEP_3)
	v_dual_mul_f32 v87, v137, v41 :: v_dual_fmac_f32 v70, v140, v42
	v_dual_mul_f32 v160, v142, v33 :: v_dual_mul_f32 v161, v144, v35
	v_mul_f32_e32 v162, v146, v49
	v_fma_f32 v166, v66, v60, -v86
	v_fmac_f32_e32 v153, v67, v60
	v_dual_fmac_f32 v156, v85, v56 :: v_dual_fmac_f32 v81, v144, v34
	s_delay_alu instid0(VALU_DEP_3)
	v_dual_fmac_f32 v87, v138, v40 :: v_dual_add_f32 v136, v64, v166
	v_fma_f32 v66, v139, v42, -v159
	v_fma_f32 v86, v143, v34, -v161
	s_wait_loadcnt_dscnt 0x0
	v_dual_mul_f32 v164, v150, v37 :: v_dual_mul_f32 v75, v151, v39
	v_mul_f32_e32 v163, v148, v51
	v_dual_mul_f32 v73, v147, v51 :: v_dual_mul_f32 v74, v149, v37
	v_mul_f32_e32 v165, v152, v39
	s_delay_alu instid0(VALU_DEP_4)
	v_fma_f32 v83, v149, v36, -v164
	v_fmac_f32_e32 v75, v152, v38
	v_dual_mul_f32 v71, v141, v33 :: v_dual_fmac_f32 v72, v146, v48
	v_fma_f32 v120, v137, v40, -v158
	v_fma_f32 v67, v141, v32, -v160
	;; [unrolled: 1-line block ×3, first 2 shown]
	v_dual_fmac_f32 v73, v148, v50 :: v_dual_fmac_f32 v74, v150, v36
	v_fma_f32 v82, v151, v38, -v165
	v_dual_add_f32 v137, v65, v153 :: v_dual_sub_f32 v144, v167, v83
	s_delay_alu instid0(VALU_DEP_4) | instskip(SKIP_1) | instid1(VALU_DEP_4)
	v_dual_sub_f32 v141, v153, v75 :: v_dual_add_f32 v146, v155, v84
	v_fma_f32 v85, v145, v48, -v162
	v_dual_add_f32 v138, v166, v82 :: v_dual_add_f32 v139, v153, v75
	v_sub_f32_e32 v140, v166, v82
	v_dual_add_f32 v143, v154, v74 :: v_dual_sub_f32 v148, v155, v84
	s_delay_alu instid0(VALU_DEP_4)
	v_dual_sub_f32 v145, v154, v74 :: v_dual_add_f32 v150, v135, v85
	v_dual_add_f32 v151, v119, v72 :: v_dual_add_f32 v136, v136, v167
	v_sub_f32_e32 v153, v119, v72
	v_dual_sub_f32 v160, v87, v81 :: v_dual_add_f32 v137, v137, v154
	v_dual_mul_f32 v154, 0xbeedf032, v141 :: v_dual_fmac_f32 v71, v142, v32
	v_dual_add_f32 v142, v167, v83 :: v_dual_add_f32 v147, v156, v73
	v_dual_sub_f32 v152, v135, v85 :: v_dual_add_f32 v157, v120, v86
	v_dual_mul_f32 v161, 0xbeedf032, v140 :: v_dual_add_f32 v136, v136, v155
	v_dual_mul_f32 v162, 0xbf52af12, v141 :: v_dual_mul_f32 v163, 0xbf52af12, v140
	v_dual_mul_f32 v164, 0xbf7e222b, v141 :: v_dual_mul_f32 v165, 0xbf7e222b, v140
	v_dual_mul_f32 v166, 0xbf6f5d39, v141 :: v_dual_mul_f32 v167, 0xbf6f5d39, v140
	v_dual_mul_f32 v168, 0xbf29c268, v141 :: v_dual_mul_f32 v169, 0xbf29c268, v140
	v_mul_f32_e32 v140, 0xbe750f2a, v140
	v_add_f32_e32 v137, v137, v156
	v_fma_f32 v155, 0x3f62ad3f, v138, -v154
	v_mul_f32_e32 v141, 0xbe750f2a, v141
	v_sub_f32_e32 v149, v156, v73
	v_dual_add_f32 v158, v87, v81 :: v_dual_sub_f32 v159, v120, v86
	v_dual_mul_f32 v170, 0xbf52af12, v145 :: v_dual_mul_f32 v171, 0xbf52af12, v144
	v_dual_mul_f32 v172, 0xbf6f5d39, v145 :: v_dual_mul_f32 v173, 0xbf6f5d39, v144
	;; [unrolled: 1-line block ×6, first 2 shown]
	v_mul_f32_e32 v144, 0x3eedf032, v144
	v_dual_mul_f32 v190, 0xbf6f5d39, v153 :: v_dual_mul_f32 v191, 0xbf6f5d39, v152
	v_dual_mul_f32 v192, 0x3f29c268, v153 :: v_dual_mul_f32 v193, 0x3f29c268, v152
	v_dual_mul_f32 v194, 0x3eedf032, v153 :: v_dual_mul_f32 v195, 0x3eedf032, v152
	v_dual_mul_f32 v196, 0xbf7e222b, v153 :: v_dual_mul_f32 v197, 0xbf7e222b, v152
	v_dual_mul_f32 v198, 0x3e750f2a, v153 :: v_dual_mul_f32 v199, 0x3e750f2a, v152
	v_dual_mul_f32 v153, 0x3f52af12, v153 :: v_dual_mul_f32 v152, 0x3f52af12, v152
	v_fmamk_f32 v156, v139, 0x3f62ad3f, v161
	v_dual_fmac_f32 v154, 0x3f62ad3f, v138 :: v_dual_add_f32 v135, v136, v135
	v_fma_f32 v161, 0x3f62ad3f, v139, -v161
	v_fma_f32 v209, 0x3f116cb1, v138, -v162
	v_dual_fmamk_f32 v210, v139, 0x3f116cb1, v163 :: v_dual_add_f32 v119, v137, v119
	v_dual_fmac_f32 v162, 0x3f116cb1, v138 :: v_dual_add_f32 v137, v65, v156
	v_fma_f32 v163, 0x3f116cb1, v139, -v163
	v_fma_f32 v211, 0x3df6dbef, v138, -v164
	v_fmamk_f32 v212, v139, 0x3df6dbef, v165
	v_fmac_f32_e32 v164, 0x3df6dbef, v138
	v_fma_f32 v165, 0x3df6dbef, v139, -v165
	v_add_f32_e32 v163, v65, v163
	v_fma_f32 v213, 0xbeb58ec6, v138, -v166
	v_fmamk_f32 v214, v139, 0xbeb58ec6, v167
	v_fmac_f32_e32 v166, 0xbeb58ec6, v138
	v_fma_f32 v167, 0xbeb58ec6, v139, -v167
	v_fma_f32 v215, 0xbf3f9e67, v138, -v168
	v_dual_fmamk_f32 v216, v139, 0xbf3f9e67, v169 :: v_dual_add_f32 v165, v65, v165
	v_fmac_f32_e32 v168, 0xbf3f9e67, v138
	v_fma_f32 v169, 0xbf3f9e67, v139, -v169
	v_add_f32_e32 v136, v64, v155
	v_fma_f32 v217, 0xbf788fa5, v138, -v141
	v_dual_fmamk_f32 v218, v139, 0xbf788fa5, v140 :: v_dual_fmac_f32 v141, 0xbf788fa5, v138
	v_fma_f32 v138, 0xbf788fa5, v139, -v140
	v_dual_mul_f32 v180, 0xbf7e222b, v149 :: v_dual_mul_f32 v181, 0xbf7e222b, v148
	v_dual_mul_f32 v182, 0xbe750f2a, v149 :: v_dual_mul_f32 v183, 0xbe750f2a, v148
	;; [unrolled: 1-line block ×7, first 2 shown]
	v_fma_f32 v139, 0x3f116cb1, v142, -v170
	v_dual_fmamk_f32 v140, v143, 0x3f116cb1, v171 :: v_dual_add_f32 v167, v65, v167
	v_fmac_f32_e32 v170, 0x3f116cb1, v142
	v_fma_f32 v171, 0x3f116cb1, v143, -v171
	v_fma_f32 v219, 0xbeb58ec6, v142, -v172
	v_dual_fmamk_f32 v220, v143, 0xbeb58ec6, v173 :: v_dual_add_f32 v169, v65, v169
	v_fmac_f32_e32 v172, 0xbeb58ec6, v142
	v_fma_f32 v173, 0xbeb58ec6, v143, -v173
	v_fma_f32 v221, 0xbf788fa5, v142, -v174
	v_fmamk_f32 v222, v143, 0xbf788fa5, v175
	v_dual_fmac_f32 v174, 0xbf788fa5, v142 :: v_dual_add_f32 v87, v119, v87
	v_fma_f32 v175, 0xbf788fa5, v143, -v175
	v_fma_f32 v223, 0xbf3f9e67, v142, -v176
	v_fmamk_f32 v224, v143, 0xbf3f9e67, v177
	v_dual_fmac_f32 v176, 0xbf3f9e67, v142 :: v_dual_add_f32 v119, v139, v136
	v_fma_f32 v177, 0xbf3f9e67, v143, -v177
	v_fma_f32 v225, 0x3df6dbef, v142, -v178
	;; [unrolled: 1-line block ×3, first 2 shown]
	v_dual_fmamk_f32 v228, v143, 0x3f62ad3f, v144 :: v_dual_fmac_f32 v145, 0x3f62ad3f, v142
	v_fma_f32 v247, 0x3f116cb1, v150, -v153
	v_dual_fmamk_f32 v248, v151, 0x3f116cb1, v152 :: v_dual_fmac_f32 v153, 0x3f116cb1, v150
	v_dual_add_f32 v155, v65, v161 :: v_dual_fmac_f32 v178, 0x3df6dbef, v142
	v_fma_f32 v142, 0x3f62ad3f, v143, -v144
	v_dual_add_f32 v161, v65, v210 :: v_dual_fmamk_f32 v226, v143, 0x3df6dbef, v179
	v_fma_f32 v179, 0x3df6dbef, v143, -v179
	v_add_f32_e32 v210, v65, v212
	v_add_f32_e32 v212, v65, v214
	;; [unrolled: 1-line block ×4, first 2 shown]
	v_dual_add_f32 v65, v65, v138 :: v_dual_mul_f32 v202, 0x3f7e222b, v160
	v_mul_f32_e32 v203, 0x3f7e222b, v159
	v_fma_f32 v143, 0x3df6dbef, v146, -v180
	v_fmamk_f32 v144, v147, 0x3df6dbef, v181
	v_fmac_f32_e32 v180, 0x3df6dbef, v146
	v_fma_f32 v181, 0x3df6dbef, v147, -v181
	v_fma_f32 v229, 0xbf788fa5, v146, -v182
	v_fmamk_f32 v230, v147, 0xbf788fa5, v183
	v_fma_f32 v183, 0xbf788fa5, v147, -v183
	v_fma_f32 v231, 0xbeb58ec6, v146, -v184
	v_fmamk_f32 v232, v147, 0xbeb58ec6, v185
	v_dual_fmac_f32 v184, 0xbeb58ec6, v146 :: v_dual_add_f32 v169, v179, v169
	v_fma_f32 v185, 0xbeb58ec6, v147, -v185
	v_fma_f32 v233, 0x3f62ad3f, v146, -v186
	v_fmac_f32_e32 v186, 0x3f62ad3f, v146
	v_fma_f32 v235, 0x3f116cb1, v146, -v188
	v_dual_fmamk_f32 v236, v147, 0x3f116cb1, v189 :: v_dual_add_f32 v65, v142, v65
	v_dual_fmac_f32 v188, 0x3f116cb1, v146 :: v_dual_add_f32 v119, v143, v119
	v_fma_f32 v189, 0x3f116cb1, v147, -v189
	v_fma_f32 v237, 0xbf3f9e67, v146, -v149
	v_dual_fmamk_f32 v238, v147, 0xbf3f9e67, v148 :: v_dual_fmac_f32 v149, 0xbf3f9e67, v146
	v_fma_f32 v239, 0xbf3f9e67, v150, -v192
	v_fma_f32 v241, 0x3f62ad3f, v150, -v194
	;; [unrolled: 1-line block ×4, first 2 shown]
	v_fmac_f32_e32 v198, 0xbf788fa5, v150
	v_add_f32_e32 v164, v64, v164
	v_dual_add_f32 v120, v135, v120 :: v_dual_add_f32 v135, v140, v137
	v_fmac_f32_e32 v182, 0xbf788fa5, v146
	v_fma_f32 v146, 0xbf3f9e67, v147, -v148
	v_dual_add_f32 v154, v64, v154 :: v_dual_add_f32 v137, v171, v155
	v_dual_add_f32 v139, v220, v161 :: v_dual_fmamk_f32 v234, v147, 0x3f62ad3f, v187
	v_fma_f32 v187, 0x3f62ad3f, v147, -v187
	v_fma_f32 v147, 0xbeb58ec6, v150, -v190
	s_delay_alu instid0(VALU_DEP_4)
	v_dual_fmac_f32 v190, 0xbeb58ec6, v150 :: v_dual_add_f32 v137, v181, v137
	v_dual_add_f32 v155, v222, v210 :: v_dual_fmamk_f32 v240, v151, 0xbf3f9e67, v193
	v_add_f32_e32 v139, v230, v139
	v_fma_f32 v193, 0xbf3f9e67, v151, -v193
	v_dual_add_f32 v162, v64, v162 :: v_dual_add_f32 v161, v175, v165
	v_dual_fmac_f32 v194, 0x3f62ad3f, v150 :: v_dual_add_f32 v165, v177, v167
	v_fmac_f32_e32 v196, 0x3df6dbef, v150
	v_dual_add_f32 v167, v226, v214 :: v_dual_fmamk_f32 v246, v151, 0xbf788fa5, v199
	v_fma_f32 v199, 0xbf788fa5, v151, -v199
	v_add_f32_e32 v156, v64, v209
	v_add_f32_e32 v209, v64, v211
	;; [unrolled: 1-line block ×7, first 2 shown]
	v_dual_add_f32 v64, v64, v141 :: v_dual_add_f32 v141, v173, v163
	v_fmac_f32_e32 v192, 0xbf3f9e67, v150
	v_fma_f32 v150, 0x3f116cb1, v151, -v152
	v_dual_fmamk_f32 v152, v158, 0xbf3f9e67, v201 :: v_dual_add_f32 v87, v87, v70
	v_dual_mul_f32 v206, 0x3e750f2a, v160 :: v_dual_mul_f32 v207, 0x3e750f2a, v159
	v_dual_fmamk_f32 v148, v151, 0xbeb58ec6, v191 :: v_dual_add_f32 v135, v144, v135
	v_fma_f32 v191, 0xbeb58ec6, v151, -v191
	s_delay_alu instid0(VALU_DEP_4) | instskip(SKIP_4) | instid1(VALU_DEP_4)
	v_dual_fmamk_f32 v250, v158, 0x3df6dbef, v203 :: v_dual_add_f32 v87, v87, v71
	v_add_f32_e32 v163, v224, v212
	v_dual_add_f32 v65, v146, v65 :: v_dual_fmamk_f32 v242, v151, 0x3f62ad3f, v195
	v_add_f32_e32 v143, v232, v155
	v_fma_f32 v195, 0x3f62ad3f, v151, -v195
	v_dual_fmamk_f32 v244, v151, 0x3df6dbef, v197 :: v_dual_add_f32 v155, v234, v163
	v_fma_f32 v197, 0x3df6dbef, v151, -v197
	v_fma_f32 v151, 0xbf3f9e67, v157, -v200
	;; [unrolled: 1-line block ×4, first 2 shown]
	v_dual_fmac_f32 v202, 0x3df6dbef, v157 :: v_dual_add_f32 v119, v147, v119
	v_dual_fmamk_f32 v254, v158, 0xbf788fa5, v207 :: v_dual_add_f32 v137, v191, v137
	v_add_f32_e32 v150, v150, v65
	v_add_f32_e32 v65, v87, v81
	v_add_f32_e32 v141, v183, v141
	v_add_f32_e32 v147, v244, v155
	v_add_f32_e32 v81, v151, v119
	v_dual_add_f32 v119, v201, v137 :: v_dual_add_f32 v120, v120, v66
	v_add_f32_e32 v65, v65, v72
	v_add_f32_e32 v64, v145, v64
	v_dual_add_f32 v141, v193, v141 :: v_dual_add_f32 v140, v172, v162
	s_delay_alu instid0(VALU_DEP_3) | instskip(NEXT) | instid1(VALU_DEP_3)
	v_dual_add_f32 v120, v120, v67 :: v_dual_add_f32 v65, v65, v73
	v_dual_mul_f32 v73, 0x3eedf032, v159 :: v_dual_add_f32 v64, v149, v64
	v_dual_add_f32 v136, v170, v154 :: v_dual_add_f32 v163, v236, v167
	v_dual_mul_f32 v204, 0xbf52af12, v160 :: v_dual_mul_f32 v205, 0xbf52af12, v159
	s_delay_alu instid0(VALU_DEP_3) | instskip(SKIP_1) | instid1(VALU_DEP_4)
	v_dual_add_f32 v153, v153, v64 :: v_dual_add_f32 v64, v120, v86
	v_add_f32_e32 v171, v228, v216
	v_dual_add_f32 v155, v246, v163 :: v_dual_fmac_f32 v200, 0xbf3f9e67, v157
	s_delay_alu instid0(VALU_DEP_4) | instskip(NEXT) | instid1(VALU_DEP_4)
	v_dual_fmamk_f32 v252, v158, 0x3f116cb1, v205 :: v_dual_add_f32 v135, v148, v135
	v_add_f32_e32 v64, v64, v85
	v_fma_f32 v253, 0xbf788fa5, v157, -v206
	v_dual_fmac_f32 v206, 0xbf788fa5, v157 :: v_dual_add_f32 v143, v242, v143
	s_delay_alu instid0(VALU_DEP_3) | instskip(SKIP_2) | instid1(VALU_DEP_3)
	v_dual_add_f32 v167, v238, v171 :: v_dual_add_f32 v64, v64, v84
	v_fma_f32 v251, 0x3f116cb1, v157, -v204
	v_dual_fmac_f32 v204, 0x3f116cb1, v157 :: v_dual_add_f32 v139, v240, v139
	v_dual_add_f32 v145, v185, v161 :: v_dual_add_f32 v64, v64, v83
	v_add_f32_e32 v161, v187, v165
	v_fma_f32 v205, 0x3f116cb1, v158, -v205
	s_delay_alu instid0(VALU_DEP_4) | instskip(NEXT) | instid1(VALU_DEP_4)
	v_dual_add_f32 v138, v219, v156 :: v_dual_add_f32 v85, v250, v139
	v_add_f32_e32 v64, v64, v82
	v_fmamk_f32 v82, v158, 0x3f62ad3f, v73
	v_dual_add_f32 v136, v180, v136 :: v_dual_add_f32 v165, v189, v169
	v_add_f32_e32 v145, v195, v145
	v_add_f32_e32 v149, v197, v161
	v_fma_f32 v203, 0x3df6dbef, v158, -v203
	s_delay_alu instid0(VALU_DEP_4) | instskip(SKIP_2) | instid1(VALU_DEP_3)
	v_add_f32_e32 v136, v190, v136
	v_add_f32_e32 v154, v221, v209
	v_dual_add_f32 v162, v223, v211 :: v_dual_add_f32 v65, v65, v74
	v_dual_add_f32 v138, v229, v138 :: v_dual_add_f32 v87, v200, v136
	v_add_f32_e32 v136, v252, v143
	v_add_f32_e32 v143, v82, v155
	v_mul_f32_e32 v82, 0xbf6f5d39, v159
	v_add_f32_e32 v142, v231, v154
	v_dual_add_f32 v161, v199, v165 :: v_dual_add_f32 v86, v152, v135
	v_add_f32_e32 v137, v205, v145
	v_fma_f32 v74, 0xbf788fa5, v158, -v207
	s_delay_alu instid0(VALU_DEP_4) | instskip(SKIP_3) | instid1(VALU_DEP_3)
	v_add_f32_e32 v142, v241, v142
	v_add_f32_e32 v156, v174, v164
	v_dual_add_f32 v164, v176, v166 :: v_dual_sub_f32 v145, v70, v71
	v_add_f32_e32 v170, v227, v215
	v_dual_add_f32 v135, v251, v142 :: v_dual_add_f32 v144, v184, v156
	v_add_f32_e32 v154, v233, v162
	v_add_f32_e32 v84, v203, v141
	;; [unrolled: 1-line block ×3, first 2 shown]
	v_sub_f32_e32 v149, v66, v67
	v_add_f32_e32 v144, v194, v144
	v_dual_add_f32 v166, v225, v213 :: v_dual_add_f32 v151, v70, v71
	v_dual_add_f32 v168, v178, v168 :: v_dual_add_f32 v65, v65, v75
	s_delay_alu instid0(VALU_DEP_2)
	v_dual_add_f32 v83, v204, v144 :: v_dual_add_f32 v162, v235, v166
	v_mul_f32_e32 v70, 0xbe750f2a, v149
	v_add_f32_e32 v166, v237, v170
	v_add_f32_e32 v146, v243, v154
	v_fma_f32 v75, 0x3f62ad3f, v157, -v208
	v_add_f32_e32 v154, v245, v162
	v_mul_f32_e32 v74, 0xbf6f5d39, v160
	v_fma_f32 v71, 0xbf788fa5, v151, -v70
	v_add_f32_e32 v138, v239, v138
	v_add_f32_e32 v162, v247, v166
	v_fma_f32 v73, 0x3f62ad3f, v158, -v73
	s_delay_alu instid0(VALU_DEP_4) | instskip(SKIP_4) | instid1(VALU_DEP_3)
	v_dual_add_f32 v156, v186, v164 :: v_dual_add_f32 v71, v71, v119
	v_dual_mul_f32 v119, 0x3f52af12, v149 :: v_dual_add_f32 v142, v75, v154
	v_fma_f32 v75, 0xbeb58ec6, v157, -v74
	v_dual_add_f32 v140, v182, v140 :: v_dual_add_f32 v163, v248, v167
	v_dual_add_f32 v72, v249, v138 :: v_dual_add_f32 v139, v254, v147
	v_add_f32_e32 v147, v75, v162
	v_add_f32_e32 v138, v253, v146
	v_dual_add_f32 v146, v73, v161 :: v_dual_fmamk_f32 v73, v158, 0xbeb58ec6, v82
	v_dual_add_f32 v148, v196, v156 :: v_dual_mul_f32 v75, 0xbe750f2a, v145
	v_fmac_f32_e32 v74, 0xbeb58ec6, v157
	v_add_f32_e32 v164, v188, v168
	s_delay_alu instid0(VALU_DEP_4) | instskip(NEXT) | instid1(VALU_DEP_3)
	v_dual_add_f32 v152, v73, v163 :: v_dual_mul_f32 v73, 0x3eedf032, v149
	v_dual_add_f32 v140, v192, v140 :: v_dual_add_f32 v153, v74, v153
	v_mul_f32_e32 v74, 0x3eedf032, v145
	v_fmac_f32_e32 v208, 0x3f62ad3f, v157
	s_delay_alu instid0(VALU_DEP_3) | instskip(SKIP_3) | instid1(VALU_DEP_2)
	v_add_f32_e32 v120, v202, v140
	v_add_f32_e32 v140, v206, v148
	;; [unrolled: 1-line block ×3, first 2 shown]
	v_fma_f32 v66, 0xbeb58ec6, v158, -v82
	v_fma_f32 v67, 0xbf788fa5, v148, -v75
	s_delay_alu instid0(VALU_DEP_2) | instskip(NEXT) | instid1(VALU_DEP_2)
	v_dual_add_f32 v150, v66, v150 :: v_dual_fmac_f32 v75, 0xbf788fa5, v148
	v_add_f32_e32 v66, v67, v81
	v_fmamk_f32 v67, v151, 0xbf788fa5, v70
	v_fma_f32 v81, 0x3f62ad3f, v148, -v74
	v_fmac_f32_e32 v74, 0x3f62ad3f, v148
	v_add_f32_e32 v70, v75, v87
	v_fmamk_f32 v75, v151, 0x3f62ad3f, v73
	v_dual_add_f32 v67, v67, v86 :: v_dual_mul_f32 v86, 0xbf29c268, v145
	v_mul_f32_e32 v87, 0x3f52af12, v145
	s_delay_alu instid0(VALU_DEP_2) | instskip(SKIP_1) | instid1(VALU_DEP_1)
	v_fma_f32 v82, 0xbf3f9e67, v148, -v86
	v_fmac_f32_e32 v86, 0xbf3f9e67, v148
	v_dual_add_f32 v83, v86, v83 :: v_dual_fmamk_f32 v86, v151, 0x3f116cb1, v119
	s_delay_alu instid0(VALU_DEP_1) | instskip(SKIP_2) | instid1(VALU_DEP_1)
	v_dual_add_f32 v86, v86, v139 :: v_dual_mul_f32 v139, 0x3f7e222b, v149
	v_add_f32_e32 v74, v74, v120
	v_fma_f32 v120, 0x3f116cb1, v151, -v119
	v_add_f32_e32 v120, v120, v141
	v_dual_mul_f32 v141, 0x3f7e222b, v145 :: v_dual_add_f32 v72, v81, v72
	v_fma_f32 v81, 0x3f62ad3f, v151, -v73
	v_add_f32_e32 v73, v75, v85
	v_mul_f32_e32 v85, 0xbf29c268, v149
	s_delay_alu instid0(VALU_DEP_3) | instskip(SKIP_1) | instid1(VALU_DEP_3)
	v_add_f32_e32 v75, v81, v84
	v_add_f32_e32 v81, v82, v135
	v_fma_f32 v84, 0xbf3f9e67, v151, -v85
	v_fmamk_f32 v82, v151, 0xbf3f9e67, v85
	v_fma_f32 v85, 0x3f116cb1, v148, -v87
	s_delay_alu instid0(VALU_DEP_3) | instskip(SKIP_1) | instid1(VALU_DEP_2)
	v_dual_fmac_f32 v87, 0x3f116cb1, v148 :: v_dual_add_f32 v84, v84, v137
	v_mul_f32_e32 v137, 0xbf6f5d39, v145
	v_add_f32_e32 v119, v87, v140
	v_fmamk_f32 v140, v151, 0x3df6dbef, v139
	s_delay_alu instid0(VALU_DEP_3) | instskip(SKIP_1) | instid1(VALU_DEP_2)
	v_fma_f32 v87, 0xbeb58ec6, v148, -v137
	v_fmac_f32_e32 v137, 0xbeb58ec6, v148
	v_dual_add_f32 v140, v140, v152 :: v_dual_add_f32 v135, v87, v142
	v_fma_f32 v87, 0x3df6dbef, v148, -v141
	v_fma_f32 v142, 0x3df6dbef, v151, -v139
	v_fmac_f32_e32 v141, 0x3df6dbef, v148
	s_delay_alu instid0(VALU_DEP_3) | instskip(SKIP_2) | instid1(VALU_DEP_4)
	v_dual_add_f32 v82, v82, v136 :: v_dual_add_f32 v139, v87, v147
	v_dual_add_f32 v156, v198, v164 :: v_dual_add_f32 v85, v85, v138
	v_mul_f32_e32 v138, 0xbf6f5d39, v149
	v_dual_add_f32 v141, v141, v153 :: v_dual_add_f32 v142, v142, v150
	s_delay_alu instid0(VALU_DEP_3) | instskip(NEXT) | instid1(VALU_DEP_3)
	v_add_f32_e32 v144, v208, v156
	v_fmamk_f32 v136, v151, 0xbeb58ec6, v138
	v_fma_f32 v138, 0xbeb58ec6, v151, -v138
	s_delay_alu instid0(VALU_DEP_2) | instskip(NEXT) | instid1(VALU_DEP_2)
	v_dual_add_f32 v137, v137, v144 :: v_dual_add_f32 v136, v136, v143
	v_add_f32_e32 v138, v138, v146
	ds_store_2addr_b64 v121, v[64:65], v[66:67] offset1:117
	ds_store_2addr_b64 v77, v[72:73], v[81:82] offset0:106 offset1:223
	ds_store_2addr_b64 v79, v[85:86], v[135:136] offset0:84 offset1:201
	;; [unrolled: 1-line block ×5, first 2 shown]
	ds_store_b64 v121, v[70:71] offset:11232
	global_wb scope:SCOPE_SE
	s_wait_dscnt 0x0
	s_barrier_signal -1
	s_barrier_wait -1
	global_inv scope:SCOPE_SE
	s_clause 0xc
	global_load_b64 v[68:69], v[68:69], off offset:12168
	global_load_b64 v[70:71], v121, s[2:3] offset:936
	global_load_b64 v[85:86], v121, s[2:3] offset:1872
	;; [unrolled: 1-line block ×12, first 2 shown]
	ds_load_2addr_b64 v[64:67], v121 offset1:117
	s_wait_loadcnt_dscnt 0xc00
	v_mul_f32_e32 v73, v65, v69
	v_mul_f32_e32 v72, v64, v69
	s_wait_loadcnt 0xb
	v_mul_f32_e32 v74, v67, v71
	v_mul_f32_e32 v69, v66, v71
	v_fma_f32 v71, v64, v68, -v73
	v_fmac_f32_e32 v72, v65, v68
	s_delay_alu instid0(VALU_DEP_4) | instskip(NEXT) | instid1(VALU_DEP_4)
	v_fma_f32 v68, v66, v70, -v74
	v_fmac_f32_e32 v69, v67, v70
	ds_store_2addr_b64 v121, v[71:72], v[68:69] offset1:117
	ds_load_2addr_b64 v[64:67], v77 offset0:106 offset1:223
	ds_load_2addr_b64 v[68:71], v79 offset0:84 offset1:201
	;; [unrolled: 1-line block ×5, first 2 shown]
	ds_load_b64 v[157:158], v121 offset:11232
	s_wait_loadcnt_dscnt 0xa05
	v_mul_f32_e32 v159, v65, v86
	v_mul_f32_e32 v87, v64, v86
	s_wait_loadcnt 0x9
	v_mul_f32_e32 v161, v67, v120
	v_mul_f32_e32 v160, v66, v120
	s_wait_loadcnt_dscnt 0x804
	v_mul_f32_e32 v162, v69, v140
	s_wait_loadcnt 0x7
	v_dual_mul_f32 v120, v68, v140 :: v_dual_mul_f32 v163, v71, v142
	v_mul_f32_e32 v140, v70, v142
	s_wait_loadcnt_dscnt 0x603
	v_mul_f32_e32 v164, v73, v144
	s_wait_loadcnt 0x5
	v_dual_mul_f32 v142, v72, v144 :: v_dual_mul_f32 v165, v75, v146
	;; [unrolled: 5-line block ×4, first 2 shown]
	v_mul_f32_e32 v152, v137, v154
	s_wait_loadcnt_dscnt 0x0
	v_mul_f32_e32 v170, v158, v156
	v_mul_f32_e32 v154, v157, v156
	v_fma_f32 v86, v64, v85, -v159
	v_fmac_f32_e32 v87, v65, v85
	v_fma_f32 v159, v66, v119, -v161
	v_fmac_f32_e32 v160, v67, v119
	;; [unrolled: 2-line block ×11, first 2 shown]
	ds_store_2addr_b64 v77, v[86:87], v[159:160] offset0:106 offset1:223
	ds_store_2addr_b64 v79, v[119:120], v[139:140] offset0:84 offset1:201
	;; [unrolled: 1-line block ×5, first 2 shown]
	ds_store_b64 v121, v[153:154] offset:11232
	global_wb scope:SCOPE_SE
	s_wait_dscnt 0x0
	s_barrier_signal -1
	s_barrier_wait -1
	global_inv scope:SCOPE_SE
	ds_load_2addr_b64 v[81:84], v121 offset1:117
	ds_load_b64 v[85:86], v121 offset:11232
	ds_load_2addr_b64 v[135:138], v77 offset0:106 offset1:223
	ds_load_2addr_b64 v[139:142], v134 offset0:18 offset1:135
	ds_load_2addr_b64 v[68:71], v79 offset0:84 offset1:201
	ds_load_2addr_b64 v[72:75], v80 offset0:40 offset1:157
	ds_load_2addr_b64 v[64:67], v78 offset0:62 offset1:179
	global_wb scope:SCOPE_SE
	s_wait_dscnt 0x0
	s_barrier_signal -1
	s_barrier_wait -1
	global_inv scope:SCOPE_SE
	v_add_f32_e32 v119, v82, v84
	v_add_f32_e32 v143, v86, v84
	;; [unrolled: 1-line block ×5, first 2 shown]
	v_sub_f32_e32 v147, v136, v142
	v_add_f32_e32 v119, v119, v136
	v_add_f32_e32 v153, v75, v69
	v_mul_f32_e32 v169, 0xbf788fa5, v145
	v_dual_mul_f32 v171, 0xbf3f9e67, v145 :: v_dual_sub_f32 v150, v137, v139
	v_mul_f32_e32 v175, 0x3df6dbef, v149
	v_sub_f32_e32 v146, v135, v141
	v_sub_f32_e32 v84, v84, v86
	v_add_f32_e32 v144, v141, v135
	v_mul_f32_e32 v157, 0x3f116cb1, v143
	v_dual_mul_f32 v164, 0xbf52af12, v147 :: v_dual_add_f32 v119, v119, v138
	v_mul_f32_e32 v136, 0x3f62ad3f, v143
	v_fmamk_f32 v205, v146, 0x3e750f2a, v169
	v_dual_fmac_f32 v169, 0xbe750f2a, v146 :: v_dual_add_f32 v120, v85, v83
	v_sub_f32_e32 v83, v83, v85
	v_sub_f32_e32 v151, v138, v140
	;; [unrolled: 1-line block ×3, first 2 shown]
	v_mul_f32_e32 v159, 0x3df6dbef, v143
	v_mul_f32_e32 v161, 0xbeb58ec6, v143
	;; [unrolled: 1-line block ×14, first 2 shown]
	v_fmamk_f32 v193, v83, 0x3f52af12, v157
	v_fmac_f32_e32 v157, 0xbf52af12, v83
	v_add_f32_e32 v69, v119, v69
	v_fmamk_f32 v138, v83, 0x3eedf032, v136
	v_mul_f32_e32 v168, 0xbe750f2a, v147
	v_mul_f32_e32 v147, 0x3eedf032, v147
	v_add_f32_e32 v87, v87, v135
	v_mul_f32_e32 v135, 0xbeedf032, v84
	v_add_f32_e32 v119, v82, v138
	v_mul_f32_e32 v165, 0x3f116cb1, v145
	v_mul_f32_e32 v167, 0xbeb58ec6, v145
	;; [unrolled: 1-line block ×4, first 2 shown]
	v_dual_mul_f32 v174, 0xbf7e222b, v151 :: v_dual_add_f32 v157, v82, v157
	v_fmac_f32_e32 v136, 0xbeedf032, v83
	v_fmamk_f32 v195, v83, 0x3f7e222b, v159
	v_fmac_f32_e32 v159, 0xbf7e222b, v83
	v_fmamk_f32 v197, v83, 0x3f6f5d39, v161
	;; [unrolled: 2-line block ×5, first 2 shown]
	v_fma_f32 v164, 0x3f116cb1, v144, -v164
	v_fmamk_f32 v202, v144, 0xbeb58ec6, v166
	v_fma_f32 v166, 0xbeb58ec6, v144, -v166
	v_fmamk_f32 v204, v144, 0xbf788fa5, v168
	;; [unrolled: 2-line block ×4, first 2 shown]
	v_add_f32_e32 v138, v82, v193
	v_fmamk_f32 v206, v144, 0xbf3f9e67, v170
	v_fma_f32 v170, 0xbf3f9e67, v144, -v170
	v_fma_f32 v144, 0x3f62ad3f, v144, -v147
	v_dual_fmamk_f32 v147, v150, 0x3f7e222b, v175 :: v_dual_add_f32 v148, v139, v137
	v_fmamk_f32 v207, v146, 0xbf29c268, v171
	v_fmac_f32_e32 v171, 0x3f29c268, v146
	v_mul_f32_e32 v156, 0xbf52af12, v84
	v_dual_mul_f32 v158, 0xbf7e222b, v84 :: v_dual_fmac_f32 v175, 0xbf7e222b, v150
	v_dual_mul_f32 v160, 0xbf6f5d39, v84 :: v_dual_fmamk_f32 v215, v150, 0xbf6f5d39, v179
	v_mul_f32_e32 v162, 0xbf29c268, v84
	v_mul_f32_e32 v84, 0xbe750f2a, v84
	v_add_f32_e32 v152, v74, v68
	v_dual_mul_f32 v184, 0xbf6f5d39, v155 :: v_dual_add_f32 v87, v87, v137
	v_fmamk_f32 v137, v120, 0x3f62ad3f, v135
	v_fma_f32 v135, 0x3f62ad3f, v120, -v135
	v_dual_fmamk_f32 v194, v120, 0x3df6dbef, v158 :: v_dual_add_f32 v193, v82, v195
	v_fma_f32 v158, 0x3df6dbef, v120, -v158
	v_dual_fmamk_f32 v196, v120, 0xbeb58ec6, v160 :: v_dual_add_f32 v159, v82, v159
	v_fma_f32 v160, 0xbeb58ec6, v120, -v160
	v_fmamk_f32 v213, v150, 0x3e750f2a, v177
	v_fmac_f32_e32 v177, 0xbe750f2a, v150
	v_dual_fmamk_f32 v200, v120, 0xbf788fa5, v84 :: v_dual_add_f32 v163, v82, v163
	v_fma_f32 v84, 0xbf788fa5, v120, -v84
	v_fmamk_f32 v219, v150, 0x3f52af12, v183
	v_fmac_f32_e32 v183, 0xbf52af12, v150
	;; [unrolled: 4-line block ×3, first 2 shown]
	v_fmamk_f32 v198, v120, 0xbf3f9e67, v162
	v_fma_f32 v162, 0xbf3f9e67, v120, -v162
	v_dual_fmamk_f32 v120, v146, 0x3f52af12, v165 :: v_dual_add_f32 v69, v69, v71
	v_dual_sub_f32 v154, v68, v74 :: v_dual_fmamk_f32 v209, v146, 0xbf7e222b, v173
	v_dual_mul_f32 v176, 0xbe750f2a, v151 :: v_dual_add_f32 v195, v82, v197
	v_dual_mul_f32 v178, 0x3f6f5d39, v151 :: v_dual_fmac_f32 v179, 0x3f6f5d39, v150
	v_mul_f32_e32 v180, 0x3eedf032, v151
	v_dual_mul_f32 v182, 0xbf52af12, v151 :: v_dual_add_f32 v161, v82, v161
	v_mul_f32_e32 v151, 0xbf29c268, v151
	v_mul_f32_e32 v187, 0xbf3f9e67, v153
	;; [unrolled: 1-line block ×3, first 2 shown]
	v_fmac_f32_e32 v165, 0xbf52af12, v146
	v_fmamk_f32 v203, v146, 0x3f6f5d39, v167
	v_fmac_f32_e32 v173, 0x3f7e222b, v146
	v_fmamk_f32 v211, v146, 0xbeedf032, v145
	v_dual_fmamk_f32 v217, v150, 0xbeedf032, v181 :: v_dual_add_f32 v156, v81, v156
	v_dual_fmac_f32 v181, 0x3eedf032, v150 :: v_dual_add_f32 v68, v87, v68
	v_dual_add_f32 v87, v81, v137 :: v_dual_add_f32 v136, v82, v136
	v_add_f32_e32 v137, v81, v192
	v_dual_add_f32 v192, v81, v194 :: v_dual_add_f32 v197, v82, v199
	v_dual_add_f32 v199, v82, v201 :: v_dual_fmamk_f32 v150, v152, 0xbeb58ec6, v184
	v_dual_add_f32 v69, v69, v65 :: v_dual_mul_f32 v190, 0xbf7e222b, v155
	v_fmac_f32_e32 v167, 0xbf6f5d39, v146
	v_fmac_f32_e32 v145, 0x3eedf032, v146
	v_fmamk_f32 v146, v148, 0x3df6dbef, v174
	v_fma_f32 v174, 0x3df6dbef, v148, -v174
	v_fmamk_f32 v212, v148, 0xbf788fa5, v176
	v_fma_f32 v176, 0xbf788fa5, v148, -v176
	v_dual_fmamk_f32 v214, v148, 0xbeb58ec6, v178 :: v_dual_add_f32 v161, v171, v161
	v_fma_f32 v178, 0xbeb58ec6, v148, -v178
	v_fmamk_f32 v216, v148, 0x3f62ad3f, v180
	v_fma_f32 v180, 0x3f62ad3f, v148, -v180
	v_dual_fmamk_f32 v218, v148, 0x3f116cb1, v182 :: v_dual_add_f32 v163, v173, v163
	;; [unrolled: 4-line block ×3, first 2 shown]
	v_dual_fmamk_f32 v223, v154, 0xbf29c268, v187 :: v_dual_add_f32 v194, v81, v196
	v_dual_fmamk_f32 v225, v154, 0xbeedf032, v189 :: v_dual_add_f32 v160, v81, v160
	v_add_f32_e32 v196, v81, v198
	v_add_f32_e32 v198, v81, v200
	;; [unrolled: 1-line block ×8, first 2 shown]
	v_dual_add_f32 v81, v81, v84 :: v_dual_add_f32 v84, v120, v119
	v_add_f32_e32 v119, v165, v136
	v_dual_add_f32 v138, v204, v192 :: v_dual_add_f32 v69, v69, v67
	v_add_f32_e32 v160, v170, v160
	v_dual_mul_f32 v186, 0x3f29c268, v155 :: v_dual_fmac_f32 v187, 0x3f29c268, v154
	v_add_f32_e32 v120, v202, v137
	s_delay_alu instid0(VALU_DEP_4)
	v_add_f32_e32 v69, v69, v73
	v_add_f32_e32 v137, v167, v157
	;; [unrolled: 1-line block ×3, first 2 shown]
	v_dual_add_f32 v159, v207, v195 :: v_dual_add_f32 v68, v68, v70
	v_dual_add_f32 v143, v215, v143 :: v_dual_add_f32 v162, v172, v162
	v_dual_add_f32 v69, v69, v75 :: v_dual_fmamk_f32 v222, v152, 0xbf3f9e67, v186
	v_add_f32_e32 v83, v146, v83
	v_add_f32_e32 v135, v213, v135
	;; [unrolled: 1-line block ×4, first 2 shown]
	v_dual_add_f32 v138, v214, v138 :: v_dual_add_f32 v69, v69, v140
	v_add_f32_e32 v145, v179, v157
	v_dual_add_f32 v157, v181, v161 :: v_dual_add_f32 v84, v147, v84
	v_add_f32_e32 v147, v217, v159
	s_delay_alu instid0(VALU_DEP_4) | instskip(SKIP_2) | instid1(VALU_DEP_3)
	v_dual_add_f32 v69, v69, v142 :: v_dual_add_f32 v68, v68, v64
	v_dual_fmamk_f32 v226, v152, 0x3df6dbef, v190 :: v_dual_add_f32 v119, v175, v119
	v_fmac_f32_e32 v189, 0x3eedf032, v154
	v_dual_add_f32 v165, v209, v197 :: v_dual_add_f32 v68, v68, v66
	v_dual_add_f32 v136, v166, v156 :: v_dual_add_f32 v167, v211, v199
	v_add_f32_e32 v156, v168, v158
	v_add_f32_e32 v81, v144, v81
	s_delay_alu instid0(VALU_DEP_4) | instskip(SKIP_2) | instid1(VALU_DEP_4)
	v_add_f32_e32 v68, v68, v72
	v_dual_add_f32 v158, v206, v194 :: v_dual_mul_f32 v191, 0x3df6dbef, v153
	v_fmac_f32_e32 v185, 0xbf6f5d39, v154
	v_add_f32_e32 v81, v148, v81
	s_delay_alu instid0(VALU_DEP_4) | instskip(SKIP_2) | instid1(VALU_DEP_3)
	v_add_f32_e32 v68, v68, v74
	v_fma_f32 v186, 0xbf3f9e67, v152, -v186
	v_dual_add_f32 v164, v208, v196 :: v_dual_add_f32 v83, v150, v83
	v_dual_add_f32 v159, v219, v165 :: v_dual_add_f32 v68, v68, v139
	;; [unrolled: 1-line block ×7, first 2 shown]
	v_add_f32_e32 v68, v68, v141
	v_fma_f32 v141, 0x3df6dbef, v152, -v190
	v_add_f32_e32 v146, v216, v158
	v_mul_f32_e32 v148, 0x3f116cb1, v153
	v_fma_f32 v184, 0xbeb58ec6, v152, -v184
	v_dual_fmamk_f32 v224, v152, 0x3f62ad3f, v188 :: v_dual_add_f32 v87, v174, v87
	v_add_f32_e32 v166, v210, v198
	v_add_f32_e32 v158, v218, v164
	v_dual_add_f32 v141, v141, v156 :: v_dual_fmamk_f32 v150, v154, 0xbf52af12, v148
	v_fmac_f32_e32 v148, 0x3f52af12, v154
	v_fmamk_f32 v86, v154, 0x3f7e222b, v191
	v_dual_fmac_f32 v191, 0xbf7e222b, v154 :: v_dual_add_f32 v74, v185, v119
	v_add_f32_e32 v119, v223, v135
	v_add_f32_e32 v135, v187, v137
	;; [unrolled: 1-line block ×3, first 2 shown]
	v_dual_add_f32 v137, v225, v143 :: v_dual_add_f32 v120, v186, v136
	v_dual_add_f32 v68, v68, v85 :: v_dual_add_f32 v85, v226, v146
	v_mul_f32_e32 v146, 0x3f52af12, v155
	v_dual_add_f32 v82, v149, v82 :: v_dual_sub_f32 v149, v71, v73
	v_add_f32_e32 v71, v73, v71
	v_add_f32_e32 v87, v184, v87
	v_mul_f32_e32 v140, 0x3e750f2a, v155
	v_add_f32_e32 v160, v182, v162
	v_dual_add_f32 v162, v220, v166 :: v_dual_add_f32 v145, v191, v157
	v_mul_f32_e32 v142, 0xbf788fa5, v153
	v_dual_add_f32 v86, v86, v147 :: v_dual_fmamk_f32 v147, v152, 0x3f116cb1, v146
	v_mul_f32_e32 v153, 0xbf29c268, v149
	v_fma_f32 v73, 0x3f116cb1, v152, -v146
	v_sub_f32_e32 v70, v70, v72
	v_mul_f32_e32 v146, 0xbf3f9e67, v71
	v_fma_f32 v188, 0x3f62ad3f, v152, -v188
	s_delay_alu instid0(VALU_DEP_4)
	v_dual_add_f32 v136, v224, v138 :: v_dual_add_f32 v73, v73, v81
	v_fmamk_f32 v143, v152, 0xbf788fa5, v140
	v_fma_f32 v140, 0xbf788fa5, v152, -v140
	v_add_f32_e32 v147, v147, v162
	v_dual_fmamk_f32 v72, v151, 0xbf3f9e67, v153 :: v_dual_add_f32 v81, v148, v82
	v_fmamk_f32 v82, v70, 0x3f29c268, v146
	v_add_f32_e32 v138, v188, v144
	v_add_f32_e32 v140, v140, v160
	v_fma_f32 v148, 0xbf3f9e67, v151, -v153
	v_mul_f32_e32 v153, 0xbf788fa5, v71
	v_dual_add_f32 v72, v72, v83 :: v_dual_mul_f32 v83, 0x3f7e222b, v149
	v_fmac_f32_e32 v146, 0xbf29c268, v70
	v_add_f32_e32 v82, v82, v84
	v_dual_mul_f32 v152, 0x3df6dbef, v71 :: v_dual_add_f32 v143, v143, v158
	s_delay_alu instid0(VALU_DEP_4) | instskip(NEXT) | instid1(VALU_DEP_4)
	v_dual_add_f32 v87, v148, v87 :: v_dual_fmamk_f32 v84, v151, 0x3df6dbef, v83
	v_add_f32_e32 v74, v146, v74
	s_delay_alu instid0(VALU_DEP_3) | instskip(SKIP_3) | instid1(VALU_DEP_4)
	v_fmamk_f32 v146, v70, 0xbf7e222b, v152
	v_fmamk_f32 v144, v154, 0xbe750f2a, v142
	v_fma_f32 v83, 0x3df6dbef, v151, -v83
	v_add_f32_e32 v75, v84, v75
	v_add_f32_e32 v84, v146, v119
	v_mul_f32_e32 v148, 0xbf52af12, v149
	v_mul_f32_e32 v146, 0x3f116cb1, v71
	v_dual_add_f32 v144, v144, v159 :: v_dual_add_f32 v83, v83, v120
	s_delay_alu instid0(VALU_DEP_3) | instskip(SKIP_1) | instid1(VALU_DEP_1)
	v_fmamk_f32 v119, v151, 0x3f116cb1, v148
	v_fma_f32 v148, 0x3f116cb1, v151, -v148
	v_add_f32_e32 v138, v148, v138
	v_mul_f32_e32 v148, 0x3f62ad3f, v71
	s_delay_alu instid0(VALU_DEP_4) | instskip(SKIP_1) | instid1(VALU_DEP_1)
	v_dual_mul_f32 v71, 0xbeb58ec6, v71 :: v_dual_add_f32 v136, v119, v136
	v_fmamk_f32 v119, v70, 0x3f52af12, v146
	v_dual_fmac_f32 v146, 0xbf52af12, v70 :: v_dual_add_f32 v137, v119, v137
	s_delay_alu instid0(VALU_DEP_1) | instskip(SKIP_3) | instid1(VALU_DEP_4)
	v_dual_fmac_f32 v152, 0x3f7e222b, v70 :: v_dual_add_f32 v139, v146, v139
	v_mul_f32_e32 v120, 0x3e750f2a, v149
	v_fmac_f32_e32 v142, 0x3e750f2a, v154
	v_fmamk_f32 v119, v70, 0xbe750f2a, v153
	v_dual_add_f32 v135, v152, v135 :: v_dual_mul_f32 v146, 0x3eedf032, v149
	s_delay_alu instid0(VALU_DEP_4) | instskip(SKIP_2) | instid1(VALU_DEP_3)
	v_fmamk_f32 v152, v151, 0xbf788fa5, v120
	v_fma_f32 v120, 0xbf788fa5, v151, -v120
	v_mul_f32_e32 v149, 0xbf6f5d39, v149
	v_dual_add_f32 v85, v152, v85 :: v_dual_add_f32 v86, v119, v86
	v_dual_fmamk_f32 v119, v151, 0x3f62ad3f, v146 :: v_dual_add_f32 v142, v142, v161
	v_fmac_f32_e32 v153, 0x3e750f2a, v70
	v_dual_add_f32 v141, v120, v141 :: v_dual_fmamk_f32 v120, v70, 0xbeedf032, v148
	s_delay_alu instid0(VALU_DEP_3) | instskip(SKIP_1) | instid1(VALU_DEP_4)
	v_add_f32_e32 v143, v119, v143
	v_fma_f32 v119, 0x3f62ad3f, v151, -v146
	v_dual_add_f32 v145, v153, v145 :: v_dual_add_f32 v150, v150, v163
	v_add_f32_e32 v152, v67, v65
	v_sub_f32_e32 v146, v65, v67
	v_fma_f32 v65, 0xbeb58ec6, v151, -v149
	v_add_f32_e32 v144, v120, v144
	v_dual_fmamk_f32 v120, v151, 0xbeb58ec6, v149 :: v_dual_sub_f32 v149, v64, v66
	s_delay_alu instid0(VALU_DEP_4) | instskip(NEXT) | instid1(VALU_DEP_4)
	v_mul_f32_e32 v67, 0x3eedf032, v146
	v_dual_add_f32 v151, v65, v73 :: v_dual_fmac_f32 v148, 0x3eedf032, v70
	s_delay_alu instid0(VALU_DEP_3) | instskip(SKIP_1) | instid1(VALU_DEP_3)
	v_dual_add_f32 v147, v120, v147 :: v_dual_mul_f32 v120, 0xbe750f2a, v146
	v_dual_add_f32 v140, v119, v140 :: v_dual_fmamk_f32 v119, v70, 0x3f6f5d39, v71
	v_add_f32_e32 v142, v148, v142
	v_add_f32_e32 v148, v66, v64
	v_mul_f32_e32 v66, 0xbf788fa5, v152
	v_fmac_f32_e32 v71, 0xbf6f5d39, v70
	v_add_f32_e32 v150, v119, v150
	s_delay_alu instid0(VALU_DEP_4) | instskip(NEXT) | instid1(VALU_DEP_4)
	v_fmamk_f32 v64, v148, 0xbf788fa5, v120
	v_fmamk_f32 v65, v149, 0x3e750f2a, v66
	v_fmac_f32_e32 v66, 0xbe750f2a, v149
	v_add_f32_e32 v153, v71, v81
	v_fma_f32 v70, 0xbf788fa5, v148, -v120
	v_add_f32_e32 v64, v64, v72
	v_dual_fmamk_f32 v72, v148, 0x3f62ad3f, v67 :: v_dual_mul_f32 v71, 0x3f62ad3f, v152
	v_add_f32_e32 v120, v66, v74
	v_add_f32_e32 v65, v65, v82
	;; [unrolled: 1-line block ×3, first 2 shown]
	s_delay_alu instid0(VALU_DEP_4)
	v_dual_add_f32 v66, v72, v75 :: v_dual_mul_f32 v75, 0xbf3f9e67, v152
	v_mul_f32_e32 v73, 0xbf29c268, v146
	v_fmamk_f32 v70, v149, 0xbeedf032, v71
	v_fma_f32 v72, 0x3f62ad3f, v148, -v67
	v_mul_f32_e32 v82, 0x3f52af12, v146
	v_fmac_f32_e32 v71, 0x3eedf032, v149
	s_delay_alu instid0(VALU_DEP_4) | instskip(NEXT) | instid1(VALU_DEP_4)
	v_dual_fmamk_f32 v74, v148, 0xbf3f9e67, v73 :: v_dual_add_f32 v67, v70, v84
	v_add_f32_e32 v70, v72, v83
	v_fma_f32 v81, 0xbf3f9e67, v148, -v73
	s_delay_alu instid0(VALU_DEP_3) | instskip(SKIP_3) | instid1(VALU_DEP_3)
	v_dual_fmamk_f32 v83, v148, 0x3f116cb1, v82 :: v_dual_add_f32 v72, v74, v136
	v_fmamk_f32 v74, v149, 0x3f29c268, v75
	v_fmac_f32_e32 v75, 0xbf29c268, v149
	v_add_f32_e32 v71, v71, v135
	v_dual_add_f32 v73, v74, v137 :: v_dual_add_f32 v74, v81, v138
	v_add_f32_e32 v81, v83, v85
	v_mul_f32_e32 v85, 0xbf6f5d39, v146
	v_mul_f32_e32 v84, 0x3f116cb1, v152
	;; [unrolled: 1-line block ×4, first 2 shown]
	v_add_f32_e32 v75, v75, v139
	s_delay_alu instid0(VALU_DEP_4)
	v_fmamk_f32 v83, v149, 0xbf52af12, v84
	v_fma_f32 v87, 0x3f116cb1, v148, -v82
	v_fma_f32 v135, 0xbeb58ec6, v148, -v85
	;; [unrolled: 1-line block ×3, first 2 shown]
	v_fmac_f32_e32 v84, 0x3f52af12, v149
	v_add_f32_e32 v82, v83, v86
	v_dual_fmamk_f32 v86, v148, 0xbeb58ec6, v85 :: v_dual_add_f32 v83, v87, v141
	v_fmamk_f32 v87, v149, 0x3f6f5d39, v136
	v_mul_f32_e32 v141, 0x3df6dbef, v152
	s_delay_alu instid0(VALU_DEP_3) | instskip(SKIP_1) | instid1(VALU_DEP_4)
	v_dual_fmac_f32 v136, 0xbf6f5d39, v149 :: v_dual_add_f32 v85, v86, v143
	v_add_f32_e32 v135, v135, v140
	v_dual_add_f32 v86, v87, v144 :: v_dual_fmamk_f32 v87, v148, 0x3df6dbef, v137
	s_delay_alu instid0(VALU_DEP_4) | instskip(SKIP_2) | instid1(VALU_DEP_3)
	v_fmamk_f32 v138, v149, 0xbf7e222b, v141
	v_fmac_f32_e32 v141, 0x3f7e222b, v149
	v_dual_add_f32 v139, v139, v151 :: v_dual_add_f32 v84, v84, v145
	v_dual_add_f32 v137, v87, v147 :: v_dual_add_f32 v138, v138, v150
	s_delay_alu instid0(VALU_DEP_3)
	v_add_f32_e32 v140, v141, v153
	v_add_f32_e32 v136, v136, v142
	ds_store_2addr_b64 v76, v[68:69], v[64:65] offset1:1
	ds_store_2addr_b64 v76, v[66:67], v[72:73] offset0:2 offset1:3
	ds_store_2addr_b64 v76, v[81:82], v[85:86] offset0:4 offset1:5
	;; [unrolled: 1-line block ×5, first 2 shown]
	ds_store_b64 v76, v[119:120] offset:96
	global_wb scope:SCOPE_SE
	s_wait_dscnt 0x0
	s_barrier_signal -1
	s_barrier_wait -1
	global_inv scope:SCOPE_SE
	ds_load_2addr_b64 v[68:71], v121 offset1:117
	ds_load_2addr_b64 v[84:87], v79 offset0:123 offset1:240
	ds_load_2addr_b64 v[80:83], v80 offset0:118 offset1:235
	;; [unrolled: 1-line block ×5, first 2 shown]
	s_and_saveexec_b32 s2, vcc_lo
	s_cbranch_execz .LBB0_11
; %bb.10:
	ds_load_b64 v[119:120], v121 offset:3744
	ds_load_b64 v[117:118], v121 offset:7800
	;; [unrolled: 1-line block ×3, first 2 shown]
.LBB0_11:
	s_wait_alu 0xfffe
	s_or_b32 exec_lo, exec_lo, s2
	s_wait_dscnt 0x4
	v_mul_f32_e32 v134, v17, v85
	s_wait_dscnt 0x3
	v_mul_f32_e32 v135, v19, v81
	v_mul_f32_e32 v19, v19, v80
	global_wb scope:SCOPE_SE
	s_wait_dscnt 0x0
	s_barrier_signal -1
	v_fmac_f32_e32 v134, v16, v84
	v_fmac_f32_e32 v135, v18, v80
	v_mul_f32_e32 v17, v17, v84
	v_fma_f32 v18, v18, v81, -v19
	s_barrier_wait -1
	global_inv scope:SCOPE_SE
	v_fma_f32 v16, v16, v85, -v17
	v_mul_f32_e32 v17, v13, v87
	v_mul_f32_e32 v19, v15, v83
	s_delay_alu instid0(VALU_DEP_2) | instskip(SKIP_1) | instid1(VALU_DEP_1)
	v_fmac_f32_e32 v17, v12, v86
	v_mul_f32_e32 v13, v13, v86
	v_fma_f32 v12, v12, v87, -v13
	s_delay_alu instid0(VALU_DEP_4) | instskip(SKIP_1) | instid1(VALU_DEP_1)
	v_fmac_f32_e32 v19, v14, v82
	v_mul_f32_e32 v15, v15, v82
	v_fma_f32 v14, v14, v83, -v15
	v_mul_f32_e32 v15, v11, v73
	s_delay_alu instid0(VALU_DEP_1) | instskip(SKIP_1) | instid1(VALU_DEP_1)
	v_fmac_f32_e32 v15, v10, v72
	v_mul_f32_e32 v11, v11, v72
	v_fma_f32 v72, v10, v73, -v11
	v_dual_add_f32 v10, v71, v12 :: v_dual_mul_f32 v13, v9, v77
	v_mul_f32_e32 v73, v7, v75
	s_delay_alu instid0(VALU_DEP_2) | instskip(SKIP_1) | instid1(VALU_DEP_3)
	v_fmac_f32_e32 v13, v8, v76
	v_mul_f32_e32 v9, v9, v76
	v_fmac_f32_e32 v73, v6, v74
	s_delay_alu instid0(VALU_DEP_2) | instskip(SKIP_3) | instid1(VALU_DEP_3)
	v_fma_f32 v76, v8, v77, -v9
	v_mul_f32_e32 v77, v5, v79
	v_mul_f32_e32 v5, v5, v78
	v_sub_f32_e32 v9, v12, v14
	v_fmac_f32_e32 v77, v4, v78
	v_mul_f32_e32 v7, v7, v74
	s_delay_alu instid0(VALU_DEP_4) | instskip(SKIP_2) | instid1(VALU_DEP_4)
	v_fma_f32 v78, v4, v79, -v5
	v_mul_f32_e32 v79, v1, v118
	v_sub_f32_e32 v5, v16, v18
	v_fma_f32 v74, v6, v75, -v7
	v_mul_f32_e32 v1, v1, v117
	v_mul_f32_e32 v75, v3, v116
	v_fmac_f32_e32 v79, v0, v117
	v_dual_mul_f32 v3, v3, v115 :: v_dual_add_f32 v6, v69, v16
	s_delay_alu instid0(VALU_DEP_4) | instskip(SKIP_1) | instid1(VALU_DEP_3)
	v_fma_f32 v80, v0, v118, -v1
	v_dual_add_f32 v0, v134, v135 :: v_dual_add_f32 v1, v68, v134
	v_fma_f32 v81, v2, v116, -v3
	v_fmac_f32_e32 v75, v2, v115
	v_add_f32_e32 v3, v16, v18
	s_delay_alu instid0(VALU_DEP_4) | instskip(SKIP_1) | instid1(VALU_DEP_2)
	v_fma_f32 v0, -0.5, v0, v68
	v_sub_f32_e32 v16, v76, v72
	v_fmamk_f32 v4, v5, 0xbf5db3d7, v0
	v_add_f32_e32 v2, v1, v135
	v_fma_f32 v1, -0.5, v3, v69
	v_sub_f32_e32 v7, v134, v135
	v_dual_add_f32 v3, v6, v18 :: v_dual_add_f32 v6, v17, v19
	v_fmac_f32_e32 v0, 0x3f5db3d7, v5
	s_delay_alu instid0(VALU_DEP_3) | instskip(SKIP_3) | instid1(VALU_DEP_4)
	v_dual_add_f32 v8, v70, v17 :: v_dual_fmamk_f32 v5, v7, 0x3f5db3d7, v1
	v_fmac_f32_e32 v1, 0xbf5db3d7, v7
	v_add_f32_e32 v7, v12, v14
	v_fma_f32 v70, -0.5, v6, v70
	v_add_f32_e32 v6, v8, v19
	v_sub_f32_e32 v11, v17, v19
	v_add_f32_e32 v17, v65, v76
	s_delay_alu instid0(VALU_DEP_4) | instskip(SKIP_1) | instid1(VALU_DEP_2)
	v_dual_fmac_f32 v71, -0.5, v7 :: v_dual_fmamk_f32 v8, v9, 0xbf5db3d7, v70
	v_dual_fmac_f32 v70, 0x3f5db3d7, v9 :: v_dual_add_f32 v7, v10, v14
	v_dual_add_f32 v10, v13, v15 :: v_dual_fmamk_f32 v9, v11, 0x3f5db3d7, v71
	v_fmac_f32_e32 v71, 0xbf5db3d7, v11
	v_add_f32_e32 v11, v76, v72
	v_add_f32_e32 v12, v64, v13
	s_delay_alu instid0(VALU_DEP_4) | instskip(SKIP_3) | instid1(VALU_DEP_4)
	v_fma_f32 v10, -0.5, v10, v64
	v_sub_f32_e32 v19, v78, v74
	v_add_f32_e32 v69, v120, v80
	v_fma_f32 v11, -0.5, v11, v65
	v_fmamk_f32 v14, v16, 0xbf5db3d7, v10
	v_sub_f32_e32 v18, v13, v15
	v_fmac_f32_e32 v10, 0x3f5db3d7, v16
	v_add_f32_e32 v16, v77, v73
	v_dual_add_f32 v12, v12, v15 :: v_dual_add_f32 v13, v17, v72
	s_delay_alu instid0(VALU_DEP_4)
	v_fmamk_f32 v15, v18, 0x3f5db3d7, v11
	v_add_f32_e32 v17, v66, v77
	v_fmac_f32_e32 v11, 0xbf5db3d7, v18
	v_add_f32_e32 v18, v78, v74
	v_fma_f32 v66, -0.5, v16, v66
	v_add_f32_e32 v69, v69, v81
	v_dual_add_f32 v16, v17, v73 :: v_dual_add_f32 v17, v67, v78
	s_delay_alu instid0(VALU_DEP_3) | instskip(SKIP_2) | instid1(VALU_DEP_4)
	v_dual_fmac_f32 v67, -0.5, v18 :: v_dual_fmamk_f32 v18, v19, 0xbf5db3d7, v66
	v_fmac_f32_e32 v66, 0x3f5db3d7, v19
	v_sub_f32_e32 v64, v77, v73
	v_add_f32_e32 v17, v17, v74
	s_delay_alu instid0(VALU_DEP_2) | instskip(SKIP_1) | instid1(VALU_DEP_1)
	v_fmamk_f32 v19, v64, 0x3f5db3d7, v67
	v_dual_fmac_f32 v67, 0xbf5db3d7, v64 :: v_dual_add_f32 v64, v80, v81
	v_dual_fmac_f32 v120, -0.5, v64 :: v_dual_add_f32 v65, v79, v75
	v_add_f32_e32 v68, v119, v79
	s_delay_alu instid0(VALU_DEP_2) | instskip(NEXT) | instid1(VALU_DEP_2)
	v_dual_sub_f32 v64, v79, v75 :: v_dual_fmac_f32 v119, -0.5, v65
	v_add_f32_e32 v68, v68, v75
	v_sub_f32_e32 v65, v80, v81
	s_delay_alu instid0(VALU_DEP_3)
	v_fmamk_f32 v73, v64, 0x3f5db3d7, v120
	v_fmac_f32_e32 v120, 0xbf5db3d7, v64
	ds_store_2addr_b64 v128, v[2:3], v[4:5] offset1:13
	ds_store_b64 v128, v[0:1] offset:208
	ds_store_2addr_b64 v127, v[6:7], v[8:9] offset1:13
	ds_store_b64 v127, v[70:71] offset:208
	;; [unrolled: 2-line block ×4, first 2 shown]
	v_fmamk_f32 v72, v65, 0xbf5db3d7, v119
	v_fmac_f32_e32 v119, 0x3f5db3d7, v65
	s_and_saveexec_b32 s2, vcc_lo
	s_cbranch_execz .LBB0_13
; %bb.12:
	v_mad_u16 v0, v123, 39, v124
	s_delay_alu instid0(VALU_DEP_1) | instskip(NEXT) | instid1(VALU_DEP_1)
	v_and_b32_e32 v0, 0xffff, v0
	v_lshlrev_b32_e32 v0, 3, v0
	ds_store_2addr_b64 v0, v[68:69], v[72:73] offset1:13
	ds_store_b64 v0, v[119:120] offset:208
.LBB0_13:
	s_wait_alu 0xfffe
	s_or_b32 exec_lo, exec_lo, s2
	v_add_nc_u32_e32 v4, 0xc00, v121
	v_add_nc_u32_e32 v5, 0x1c00, v121
	;; [unrolled: 1-line block ×5, first 2 shown]
	global_wb scope:SCOPE_SE
	s_wait_dscnt 0x0
	s_barrier_signal -1
	s_barrier_wait -1
	global_inv scope:SCOPE_SE
	ds_load_2addr_b64 v[0:3], v121 offset1:117
	ds_load_2addr_b64 v[64:67], v4 offset0:123 offset1:240
	ds_load_2addr_b64 v[16:19], v5 offset0:118 offset1:235
	;; [unrolled: 1-line block ×5, first 2 shown]
	s_and_saveexec_b32 s2, vcc_lo
	s_cbranch_execz .LBB0_15
; %bb.14:
	ds_load_b64 v[68:69], v121 offset:3744
	ds_load_b64 v[72:73], v121 offset:7800
	;; [unrolled: 1-line block ×3, first 2 shown]
.LBB0_15:
	s_wait_alu 0xfffe
	s_or_b32 exec_lo, exec_lo, s2
	s_wait_dscnt 0x4
	v_mul_f32_e32 v70, v53, v65
	v_mul_f32_e32 v53, v53, v64
	s_wait_dscnt 0x3
	v_mul_f32_e32 v71, v55, v17
	v_mul_f32_e32 v55, v55, v16
	global_wb scope:SCOPE_SE
	s_wait_dscnt 0x0
	v_fmac_f32_e32 v70, v52, v64
	v_fma_f32 v52, v52, v65, -v53
	v_mul_f32_e32 v53, v45, v67
	v_dual_fmac_f32 v71, v54, v16 :: v_dual_mul_f32 v16, v45, v66
	v_mul_f32_e32 v45, v47, v19
	v_mul_f32_e32 v47, v47, v18
	s_delay_alu instid0(VALU_DEP_4)
	v_fmac_f32_e32 v53, v44, v66
	v_fma_f32 v17, v54, v17, -v55
	v_fma_f32 v16, v44, v67, -v16
	v_dual_mul_f32 v44, v29, v13 :: v_dual_fmac_f32 v45, v46, v18
	v_dual_mul_f32 v18, v29, v12 :: v_dual_mul_f32 v29, v31, v9
	s_barrier_signal -1
	s_delay_alu instid0(VALU_DEP_2) | instskip(SKIP_1) | instid1(VALU_DEP_3)
	v_fmac_f32_e32 v44, v28, v12
	v_mul_f32_e32 v12, v31, v8
	v_fma_f32 v18, v28, v13, -v18
	v_dual_mul_f32 v28, v25, v15 :: v_dual_fmac_f32 v29, v30, v8
	v_mul_f32_e32 v8, v25, v14
	s_delay_alu instid0(VALU_DEP_4) | instskip(SKIP_1) | instid1(VALU_DEP_4)
	v_fma_f32 v25, v30, v9, -v12
	v_mul_f32_e32 v30, v27, v11
	v_fmac_f32_e32 v28, v24, v14
	v_mul_f32_e32 v9, v27, v10
	v_fma_f32 v24, v24, v15, -v8
	v_add_f32_e32 v8, v70, v71
	v_fmac_f32_e32 v30, v26, v10
	v_fma_f32 v19, v46, v19, -v47
	v_fma_f32 v27, v26, v11, -v9
	v_add_f32_e32 v9, v52, v17
	v_dual_add_f32 v10, v0, v70 :: v_dual_sub_f32 v13, v70, v71
	v_fma_f32 v0, -0.5, v8, v0
	v_dual_sub_f32 v11, v52, v17 :: v_dual_add_f32 v12, v1, v52
	s_delay_alu instid0(VALU_DEP_4) | instskip(NEXT) | instid1(VALU_DEP_4)
	v_fma_f32 v1, -0.5, v9, v1
	v_add_f32_e32 v8, v10, v71
	v_dual_add_f32 v14, v2, v53 :: v_dual_sub_f32 v15, v16, v19
	s_delay_alu instid0(VALU_DEP_4) | instskip(NEXT) | instid1(VALU_DEP_4)
	v_fmamk_f32 v10, v11, 0xbf5db3d7, v0
	v_dual_fmac_f32 v0, 0x3f5db3d7, v11 :: v_dual_fmamk_f32 v11, v13, 0x3f5db3d7, v1
	v_fmac_f32_e32 v1, 0xbf5db3d7, v13
	v_add_f32_e32 v9, v12, v17
	v_dual_add_f32 v12, v53, v45 :: v_dual_add_f32 v13, v16, v19
	v_add_f32_e32 v16, v3, v16
	v_dual_sub_f32 v26, v18, v25 :: v_dual_add_f32 v31, v7, v24
	s_delay_alu instid0(VALU_DEP_3) | instskip(NEXT) | instid1(VALU_DEP_4)
	v_fma_f32 v2, -0.5, v12, v2
	v_fmac_f32_e32 v3, -0.5, v13
	s_delay_alu instid0(VALU_DEP_4) | instskip(NEXT) | instid1(VALU_DEP_3)
	v_dual_add_f32 v12, v14, v45 :: v_dual_add_f32 v13, v16, v19
	v_dual_sub_f32 v17, v53, v45 :: v_dual_fmamk_f32 v14, v15, 0xbf5db3d7, v2
	v_add_f32_e32 v16, v44, v29
	v_dual_add_f32 v19, v4, v44 :: v_dual_fmac_f32 v2, 0x3f5db3d7, v15
	s_delay_alu instid0(VALU_DEP_3) | instskip(SKIP_1) | instid1(VALU_DEP_3)
	v_fmamk_f32 v15, v17, 0x3f5db3d7, v3
	s_barrier_wait -1
	v_fma_f32 v4, -0.5, v16, v4
	v_fmac_f32_e32 v3, 0xbf5db3d7, v17
	v_add_f32_e32 v17, v18, v25
	v_dual_add_f32 v16, v19, v29 :: v_dual_add_f32 v19, v5, v18
	s_delay_alu instid0(VALU_DEP_4) | instskip(SKIP_1) | instid1(VALU_DEP_4)
	v_dual_sub_f32 v29, v44, v29 :: v_dual_fmamk_f32 v18, v26, 0xbf5db3d7, v4
	v_fmac_f32_e32 v4, 0x3f5db3d7, v26
	v_fma_f32 v5, -0.5, v17, v5
	s_delay_alu instid0(VALU_DEP_4)
	v_dual_add_f32 v17, v19, v25 :: v_dual_add_f32 v26, v24, v27
	v_add_f32_e32 v25, v28, v30
	global_inv scope:SCOPE_SE
	v_fmamk_f32 v19, v29, 0x3f5db3d7, v5
	v_fmac_f32_e32 v5, 0xbf5db3d7, v29
	v_add_f32_e32 v29, v6, v28
	v_fma_f32 v6, -0.5, v25, v6
	v_sub_f32_e32 v25, v24, v27
	v_fmac_f32_e32 v7, -0.5, v26
	v_sub_f32_e32 v28, v28, v30
	s_delay_alu instid0(VALU_DEP_3) | instskip(SKIP_2) | instid1(VALU_DEP_4)
	v_fmamk_f32 v26, v25, 0xbf5db3d7, v6
	v_fmac_f32_e32 v6, 0x3f5db3d7, v25
	v_dual_add_f32 v24, v29, v30 :: v_dual_add_f32 v25, v31, v27
	v_fmamk_f32 v27, v28, 0x3f5db3d7, v7
	v_fmac_f32_e32 v7, 0xbf5db3d7, v28
	ds_store_2addr_b64 v133, v[8:9], v[10:11] offset1:39
	ds_store_b64 v133, v[0:1] offset:624
	ds_store_2addr_b64 v132, v[12:13], v[14:15] offset1:39
	ds_store_b64 v132, v[2:3] offset:624
	;; [unrolled: 2-line block ×4, first 2 shown]
	s_and_saveexec_b32 s2, vcc_lo
	s_cbranch_execz .LBB0_17
; %bb.16:
	v_dual_mul_f32 v0, v21, v72 :: v_dual_mul_f32 v1, v23, v119
	v_dual_mul_f32 v6, v23, v120 :: v_dual_lshlrev_b32 v7, 3, v129
	s_delay_alu instid0(VALU_DEP_2) | instskip(NEXT) | instid1(VALU_DEP_3)
	v_fma_f32 v0, v20, v73, -v0
	v_fma_f32 v3, v22, v120, -v1
	v_mul_f32_e32 v2, v21, v73
	s_delay_alu instid0(VALU_DEP_3) | instskip(NEXT) | instid1(VALU_DEP_3)
	v_dual_fmac_f32 v6, v22, v119 :: v_dual_add_f32 v5, v69, v0
	v_add_f32_e32 v1, v0, v3
	s_delay_alu instid0(VALU_DEP_3) | instskip(SKIP_1) | instid1(VALU_DEP_4)
	v_fmac_f32_e32 v2, v20, v72
	v_sub_f32_e32 v9, v0, v3
	v_add_f32_e32 v3, v5, v3
	s_delay_alu instid0(VALU_DEP_4) | instskip(NEXT) | instid1(VALU_DEP_4)
	v_fma_f32 v1, -0.5, v1, v69
	v_sub_f32_e32 v8, v2, v6
	v_add_f32_e32 v4, v2, v6
	v_add_f32_e32 v2, v68, v2
	s_delay_alu instid0(VALU_DEP_3) | instskip(SKIP_1) | instid1(VALU_DEP_4)
	v_fmamk_f32 v5, v8, 0xbf5db3d7, v1
	v_fmac_f32_e32 v1, 0x3f5db3d7, v8
	v_fma_f32 v0, -0.5, v4, v68
	s_delay_alu instid0(VALU_DEP_4) | instskip(SKIP_1) | instid1(VALU_DEP_3)
	v_add_f32_e32 v2, v2, v6
	v_add_nc_u32_e32 v6, 0x2800, v7
	v_fmamk_f32 v4, v9, 0x3f5db3d7, v0
	v_fmac_f32_e32 v0, 0xbf5db3d7, v9
	ds_store_2addr_b64 v6, v[2:3], v[0:1] offset0:124 offset1:163
	ds_store_b64 v7, v[4:5] offset:11856
.LBB0_17:
	s_wait_alu 0xfffe
	s_or_b32 exec_lo, exec_lo, s2
	global_wb scope:SCOPE_SE
	s_wait_dscnt 0x0
	s_barrier_signal -1
	s_barrier_wait -1
	global_inv scope:SCOPE_SE
	ds_load_2addr_b64 v[13:16], v121 offset1:117
	v_add_nc_u32_e32 v6, 0x400, v121
	v_add_nc_u32_e32 v5, 0xc00, v121
	;; [unrolled: 1-line block ×3, first 2 shown]
	s_mov_b32 s2, 0x509ee28c
	s_mov_b32 s3, 0x3f458b31
	s_wait_dscnt 0x0
	v_mul_f32_e32 v11, v61, v15
	v_mul_f32_e32 v29, v61, v16
	ds_load_2addr_b64 v[7:10], v6 offset0:106 offset1:223
	ds_load_2addr_b64 v[17:20], v5 offset0:84 offset1:201
	v_add_nc_u32_e32 v3, 0x1c00, v121
	v_add_nc_u32_e32 v2, 0x2400, v121
	ds_load_b64 v[0:1], v121 offset:11232
	v_fmac_f32_e32 v29, v60, v15
	v_fma_f32 v15, v60, v16, -v11
	s_wait_dscnt 0x2
	v_mul_f32_e32 v12, v63, v7
	ds_load_2addr_b64 v[21:24], v4 offset0:62 offset1:179
	ds_load_2addr_b64 v[25:28], v3 offset0:40 offset1:157
	;; [unrolled: 1-line block ×3, first 2 shown]
	v_mul_f32_e32 v16, v63, v8
	s_wait_dscnt 0x4
	v_dual_mul_f32 v30, v57, v10 :: v_dual_mul_f32 v53, v59, v17
	v_dual_mul_f32 v31, v57, v9 :: v_dual_mul_f32 v52, v59, v18
	s_delay_alu instid0(VALU_DEP_3) | instskip(SKIP_1) | instid1(VALU_DEP_4)
	v_dual_mul_f32 v11, v41, v20 :: v_dual_fmac_f32 v16, v62, v7
	v_fma_f32 v54, v62, v8, -v12
	v_fmac_f32_e32 v30, v56, v9
	s_delay_alu instid0(VALU_DEP_4)
	v_fma_f32 v31, v56, v10, -v31
	v_mul_f32_e32 v8, v41, v19
	v_add_f32_e32 v10, v13, v29
	v_dual_fmac_f32 v52, v58, v17 :: v_dual_fmac_f32 v11, v40, v19
	v_fma_f32 v17, v58, v18, -v53
	v_add_f32_e32 v18, v14, v15
	s_wait_dscnt 0x2
	v_dual_add_f32 v10, v10, v16 :: v_dual_mul_f32 v19, v33, v23
	v_mul_f32_e32 v7, v43, v22
	v_mul_f32_e32 v9, v43, v21
	v_fma_f32 v12, v40, v20, -v8
	v_mul_f32_e32 v8, v33, v24
	s_wait_dscnt 0x1
	v_dual_mul_f32 v20, v35, v26 :: v_dual_fmac_f32 v7, v42, v21
	v_add_f32_e32 v21, v10, v30
	v_fma_f32 v10, v32, v24, -v19
	v_dual_fmac_f32 v8, v32, v23 :: v_dual_mul_f32 v19, v35, v25
	s_delay_alu instid0(VALU_DEP_3)
	v_dual_add_f32 v18, v18, v54 :: v_dual_add_f32 v21, v21, v52
	v_dual_mul_f32 v23, v49, v27 :: v_dual_fmac_f32 v20, v34, v25
	v_fma_f32 v9, v42, v22, -v9
	v_mul_f32_e32 v22, v49, v28
	s_wait_dscnt 0x0
	v_dual_add_f32 v21, v21, v11 :: v_dual_mul_f32 v24, v51, v45
	v_fma_f32 v23, v48, v28, -v23
	v_mul_f32_e32 v28, v39, v1
	v_fma_f32 v19, v34, v26, -v19
	s_delay_alu instid0(VALU_DEP_4) | instskip(SKIP_1) | instid1(VALU_DEP_4)
	v_add_f32_e32 v21, v21, v7
	v_dual_add_f32 v18, v18, v31 :: v_dual_mul_f32 v25, v51, v44
	v_fmac_f32_e32 v28, v38, v0
	s_delay_alu instid0(VALU_DEP_2) | instskip(SKIP_1) | instid1(VALU_DEP_4)
	v_dual_add_f32 v21, v21, v8 :: v_dual_add_f32 v18, v18, v17
	v_dual_fmac_f32 v22, v48, v27 :: v_dual_mul_f32 v27, v39, v0
	v_fma_f32 v25, v50, v45, -v25
	s_delay_alu instid0(VALU_DEP_3) | instskip(NEXT) | instid1(VALU_DEP_4)
	v_add_f32_e32 v21, v21, v20
	v_add_f32_e32 v18, v18, v12
	s_delay_alu instid0(VALU_DEP_4) | instskip(SKIP_1) | instid1(VALU_DEP_3)
	v_fma_f32 v1, v38, v1, -v27
	v_mul_f32_e32 v27, v37, v46
	v_dual_add_f32 v21, v21, v22 :: v_dual_add_f32 v18, v18, v9
	s_delay_alu instid0(VALU_DEP_3) | instskip(SKIP_2) | instid1(VALU_DEP_3)
	v_sub_f32_e32 v32, v15, v1
	v_dual_mul_f32 v26, v37, v47 :: v_dual_add_f32 v15, v15, v1
	v_fmac_f32_e32 v24, v50, v44
	v_dual_add_f32 v18, v18, v10 :: v_dual_mul_f32 v33, 0xbeedf032, v32
	s_delay_alu instid0(VALU_DEP_3) | instskip(NEXT) | instid1(VALU_DEP_3)
	v_dual_fmac_f32 v26, v36, v46 :: v_dual_mul_f32 v35, 0x3f62ad3f, v15
	v_add_f32_e32 v0, v21, v24
	v_add_f32_e32 v21, v29, v28
	s_delay_alu instid0(VALU_DEP_4) | instskip(NEXT) | instid1(VALU_DEP_3)
	v_dual_sub_f32 v29, v29, v28 :: v_dual_add_f32 v18, v18, v19
	v_dual_mul_f32 v41, 0x3df6dbef, v15 :: v_dual_add_f32 v0, v0, v26
	s_delay_alu instid0(VALU_DEP_3)
	v_fmamk_f32 v34, v21, 0x3f62ad3f, v33
	v_fma_f32 v33, 0x3f62ad3f, v21, -v33
	v_fma_f32 v27, v36, v47, -v27
	v_add_f32_e32 v56, v16, v26
	v_add_f32_e32 v0, v0, v28
	v_fmamk_f32 v28, v29, 0x3eedf032, v35
	v_dual_fmac_f32 v35, 0xbeedf032, v29 :: v_dual_add_f32 v18, v18, v23
	v_add_f32_e32 v33, v13, v33
	v_fmamk_f32 v43, v29, 0x3f7e222b, v41
	v_fmac_f32_e32 v41, 0xbf7e222b, v29
	s_delay_alu instid0(VALU_DEP_4) | instskip(SKIP_4) | instid1(VALU_DEP_4)
	v_add_f32_e32 v35, v14, v35
	v_dual_add_f32 v18, v18, v25 :: v_dual_mul_f32 v39, 0xbf7e222b, v32
	v_mul_f32_e32 v45, 0xbeb58ec6, v15
	v_add_f32_e32 v43, v14, v43
	v_add_f32_e32 v41, v14, v41
	;; [unrolled: 1-line block ×4, first 2 shown]
	v_sub_f32_e32 v16, v16, v26
	v_fmamk_f32 v46, v29, 0x3f6f5d39, v45
	v_fmac_f32_e32 v45, 0xbf6f5d39, v29
	v_dual_add_f32 v1, v18, v1 :: v_dual_add_f32 v18, v13, v34
	v_mul_f32_e32 v36, 0x3f116cb1, v15
	s_delay_alu instid0(VALU_DEP_3) | instskip(SKIP_2) | instid1(VALU_DEP_4)
	v_dual_fmamk_f32 v40, v21, 0x3df6dbef, v39 :: v_dual_add_f32 v45, v14, v45
	v_mul_f32_e32 v42, 0xbf6f5d39, v32
	v_fma_f32 v39, 0x3df6dbef, v21, -v39
	v_dual_fmamk_f32 v38, v29, 0x3f52af12, v36 :: v_dual_sub_f32 v53, v54, v27
	v_mul_f32_e32 v34, 0xbf52af12, v32
	v_mul_f32_e32 v47, 0xbf29c268, v32
	s_delay_alu instid0(VALU_DEP_3) | instskip(SKIP_1) | instid1(VALU_DEP_4)
	v_dual_add_f32 v39, v13, v39 :: v_dual_add_f32 v38, v14, v38
	v_mul_f32_e32 v32, 0xbe750f2a, v32
	v_fmamk_f32 v37, v21, 0x3f116cb1, v34
	v_fma_f32 v34, 0x3f116cb1, v21, -v34
	v_dual_mul_f32 v48, 0xbf3f9e67, v15 :: v_dual_fmamk_f32 v49, v21, 0xbf3f9e67, v47
	s_delay_alu instid0(VALU_DEP_4) | instskip(SKIP_4) | instid1(VALU_DEP_4)
	v_dual_add_f32 v46, v14, v46 :: v_dual_fmamk_f32 v51, v21, 0xbf788fa5, v32
	v_mul_f32_e32 v57, 0xbf52af12, v53
	v_dual_add_f32 v27, v54, v27 :: v_dual_add_f32 v40, v13, v40
	v_dual_add_f32 v34, v13, v34 :: v_dual_mul_f32 v15, 0xbf788fa5, v15
	v_fmamk_f32 v50, v29, 0x3f29c268, v48
	v_dual_add_f32 v51, v13, v51 :: v_dual_fmamk_f32 v26, v56, 0x3f116cb1, v57
	v_fmamk_f32 v44, v21, 0xbeb58ec6, v42
	v_fma_f32 v42, 0xbeb58ec6, v21, -v42
	v_fma_f32 v47, 0xbf3f9e67, v21, -v47
	v_fmac_f32_e32 v36, 0xbf52af12, v29
	v_dual_add_f32 v50, v14, v50 :: v_dual_fmamk_f32 v55, v29, 0x3e750f2a, v15
	s_delay_alu instid0(VALU_DEP_4) | instskip(NEXT) | instid1(VALU_DEP_4)
	v_dual_add_f32 v42, v13, v42 :: v_dual_fmac_f32 v15, 0xbe750f2a, v29
	v_dual_fmac_f32 v48, 0xbf29c268, v29 :: v_dual_add_f32 v47, v13, v47
	s_delay_alu instid0(VALU_DEP_4) | instskip(SKIP_1) | instid1(VALU_DEP_3)
	v_dual_add_f32 v36, v14, v36 :: v_dual_add_f32 v49, v13, v49
	v_fma_f32 v21, 0xbf788fa5, v21, -v32
	v_dual_add_f32 v48, v14, v48 :: v_dual_mul_f32 v29, 0x3f116cb1, v27
	v_add_f32_e32 v32, v14, v55
	v_add_f32_e32 v14, v14, v15
	v_dual_add_f32 v15, v26, v18 :: v_dual_add_f32 v44, v13, v44
	v_add_f32_e32 v37, v13, v37
	v_dual_add_f32 v13, v13, v21 :: v_dual_fmamk_f32 v18, v16, 0x3f52af12, v29
	v_mul_f32_e32 v21, 0xbf6f5d39, v53
	v_fmac_f32_e32 v29, 0xbf52af12, v16
	v_fma_f32 v26, 0x3f116cb1, v56, -v57
	v_mul_f32_e32 v54, 0xbeb58ec6, v27
	v_dual_add_f32 v18, v18, v28 :: v_dual_mul_f32 v55, 0xbf3f9e67, v27
	s_delay_alu instid0(VALU_DEP_4) | instskip(SKIP_1) | instid1(VALU_DEP_4)
	v_dual_fmamk_f32 v28, v56, 0xbeb58ec6, v21 :: v_dual_add_f32 v29, v29, v35
	v_mul_f32_e32 v35, 0xbe750f2a, v53
	v_dual_add_f32 v26, v26, v33 :: v_dual_fmamk_f32 v33, v16, 0x3f6f5d39, v54
	s_delay_alu instid0(VALU_DEP_3) | instskip(SKIP_1) | instid1(VALU_DEP_4)
	v_add_f32_e32 v28, v28, v37
	v_fma_f32 v21, 0xbeb58ec6, v56, -v21
	v_fmamk_f32 v37, v56, 0xbf788fa5, v35
	v_fma_f32 v35, 0xbf788fa5, v56, -v35
	v_dual_add_f32 v33, v33, v38 :: v_dual_mul_f32 v38, 0xbf788fa5, v27
	s_delay_alu instid0(VALU_DEP_4) | instskip(NEXT) | instid1(VALU_DEP_4)
	v_add_f32_e32 v21, v21, v34
	v_add_f32_e32 v37, v37, v40
	s_delay_alu instid0(VALU_DEP_3) | instskip(SKIP_1) | instid1(VALU_DEP_2)
	v_dual_add_f32 v35, v35, v39 :: v_dual_fmamk_f32 v40, v16, 0x3e750f2a, v38
	v_fmac_f32_e32 v38, 0xbe750f2a, v16
	v_add_f32_e32 v40, v40, v43
	s_delay_alu instid0(VALU_DEP_2) | instskip(SKIP_2) | instid1(VALU_DEP_3)
	v_dual_add_f32 v38, v38, v41 :: v_dual_fmamk_f32 v41, v16, 0xbf29c268, v55
	v_fmac_f32_e32 v55, 0x3f29c268, v16
	v_mul_f32_e32 v43, 0x3f7e222b, v53
	v_dual_add_f32 v41, v41, v46 :: v_dual_fmac_f32 v54, 0xbf6f5d39, v16
	s_delay_alu instid0(VALU_DEP_1) | instskip(NEXT) | instid1(VALU_DEP_3)
	v_dual_add_f32 v45, v55, v45 :: v_dual_add_f32 v34, v54, v36
	v_fmamk_f32 v46, v56, 0x3df6dbef, v43
	v_fma_f32 v43, 0x3df6dbef, v56, -v43
	v_mul_f32_e32 v36, 0x3f29c268, v53
	v_mul_f32_e32 v53, 0x3eedf032, v53
	s_delay_alu instid0(VALU_DEP_2)
	v_dual_add_f32 v43, v43, v47 :: v_dual_fmamk_f32 v54, v56, 0xbf3f9e67, v36
	v_fma_f32 v36, 0xbf3f9e67, v56, -v36
	v_sub_f32_e32 v47, v31, v25
	v_add_f32_e32 v25, v31, v25
	v_fma_f32 v31, 0x3f62ad3f, v56, -v53
	v_dual_add_f32 v39, v54, v44 :: v_dual_mul_f32 v44, 0x3df6dbef, v27
	v_dual_add_f32 v36, v36, v42 :: v_dual_mul_f32 v27, 0x3f62ad3f, v27
	v_dual_add_f32 v46, v46, v49 :: v_dual_fmamk_f32 v49, v56, 0x3f62ad3f, v53
	s_delay_alu instid0(VALU_DEP_3) | instskip(SKIP_1) | instid1(VALU_DEP_1)
	v_fmamk_f32 v42, v16, 0xbf7e222b, v44
	v_dual_fmac_f32 v44, 0x3f7e222b, v16 :: v_dual_add_f32 v13, v31, v13
	v_add_f32_e32 v44, v44, v48
	s_delay_alu instid0(VALU_DEP_4) | instskip(NEXT) | instid1(VALU_DEP_4)
	v_add_f32_e32 v48, v49, v51
	v_dual_mul_f32 v51, 0xbf7e222b, v47 :: v_dual_add_f32 v42, v42, v50
	v_dual_add_f32 v50, v30, v24 :: v_dual_fmamk_f32 v49, v16, 0xbeedf032, v27
	v_fmac_f32_e32 v27, 0x3eedf032, v16
	v_sub_f32_e32 v16, v30, v24
	v_mul_f32_e32 v30, 0x3df6dbef, v25
	s_delay_alu instid0(VALU_DEP_4) | instskip(SKIP_2) | instid1(VALU_DEP_3)
	v_fma_f32 v31, 0x3df6dbef, v50, -v51
	v_dual_add_f32 v32, v49, v32 :: v_dual_mul_f32 v49, 0xbf788fa5, v25
	v_dual_add_f32 v14, v27, v14 :: v_dual_mul_f32 v27, 0xbe750f2a, v47
	;; [unrolled: 1-line block ×3, first 2 shown]
	v_fmamk_f32 v24, v50, 0x3df6dbef, v51
	v_mul_f32_e32 v51, 0x3f62ad3f, v25
	s_delay_alu instid0(VALU_DEP_2) | instskip(SKIP_2) | instid1(VALU_DEP_2)
	v_add_f32_e32 v15, v24, v15
	v_fmamk_f32 v24, v16, 0x3f7e222b, v30
	v_fmac_f32_e32 v30, 0xbf7e222b, v16
	v_add_f32_e32 v18, v24, v18
	v_fmamk_f32 v24, v50, 0xbf788fa5, v27
	s_delay_alu instid0(VALU_DEP_3) | instskip(SKIP_1) | instid1(VALU_DEP_3)
	v_dual_add_f32 v29, v30, v29 :: v_dual_fmamk_f32 v30, v16, 0x3e750f2a, v49
	v_fma_f32 v27, 0xbf788fa5, v50, -v27
	v_add_f32_e32 v24, v24, v28
	s_delay_alu instid0(VALU_DEP_3) | instskip(SKIP_4) | instid1(VALU_DEP_4)
	v_add_f32_e32 v28, v30, v33
	v_dual_fmamk_f32 v30, v50, 0xbeb58ec6, v31 :: v_dual_mul_f32 v33, 0xbeb58ec6, v25
	v_fmac_f32_e32 v49, 0xbe750f2a, v16
	v_add_f32_e32 v21, v27, v21
	v_fma_f32 v31, 0xbeb58ec6, v50, -v31
	v_dual_add_f32 v30, v30, v37 :: v_dual_fmamk_f32 v37, v16, 0xbf6f5d39, v33
	s_delay_alu instid0(VALU_DEP_4) | instskip(SKIP_1) | instid1(VALU_DEP_4)
	v_dual_add_f32 v27, v49, v34 :: v_dual_mul_f32 v34, 0x3eedf032, v47
	v_fmac_f32_e32 v33, 0x3f6f5d39, v16
	v_add_f32_e32 v31, v31, v35
	s_delay_alu instid0(VALU_DEP_4) | instskip(NEXT) | instid1(VALU_DEP_3)
	v_add_f32_e32 v37, v37, v40
	v_dual_add_f32 v33, v33, v38 :: v_dual_fmamk_f32 v38, v16, 0xbeedf032, v51
	v_fmac_f32_e32 v51, 0x3eedf032, v16
	v_fmamk_f32 v49, v50, 0x3f62ad3f, v34
	v_fma_f32 v34, 0x3f62ad3f, v50, -v34
	s_delay_alu instid0(VALU_DEP_4) | instskip(NEXT) | instid1(VALU_DEP_4)
	v_add_f32_e32 v38, v38, v41
	v_add_f32_e32 v45, v51, v45
	s_delay_alu instid0(VALU_DEP_4) | instskip(SKIP_4) | instid1(VALU_DEP_4)
	v_add_f32_e32 v35, v49, v39
	v_mul_f32_e32 v39, 0xbf52af12, v47
	v_mul_f32_e32 v40, 0x3f116cb1, v25
	v_dual_mul_f32 v47, 0xbf29c268, v47 :: v_dual_add_f32 v34, v34, v36
	v_mul_f32_e32 v25, 0xbf3f9e67, v25
	v_fmamk_f32 v41, v50, 0x3f116cb1, v39
	v_fma_f32 v39, 0x3f116cb1, v50, -v39
	s_delay_alu instid0(VALU_DEP_2) | instskip(NEXT) | instid1(VALU_DEP_2)
	v_add_f32_e32 v41, v41, v46
	v_add_f32_e32 v39, v39, v43
	v_sub_f32_e32 v43, v17, v23
	v_add_f32_e32 v17, v17, v23
	v_fma_f32 v23, 0xbf3f9e67, v50, -v47
	v_fmamk_f32 v36, v16, 0x3f52af12, v40
	s_delay_alu instid0(VALU_DEP_2) | instskip(NEXT) | instid1(VALU_DEP_2)
	v_dual_fmac_f32 v40, 0xbf52af12, v16 :: v_dual_add_f32 v13, v23, v13
	v_add_f32_e32 v36, v36, v42
	v_fmamk_f32 v42, v50, 0xbf3f9e67, v47
	s_delay_alu instid0(VALU_DEP_3) | instskip(SKIP_2) | instid1(VALU_DEP_4)
	v_dual_add_f32 v40, v40, v44 :: v_dual_mul_f32 v47, 0xbeb58ec6, v17
	v_fmamk_f32 v44, v16, 0x3f29c268, v25
	v_fmac_f32_e32 v25, 0xbf29c268, v16
	v_dual_add_f32 v42, v42, v48 :: v_dual_mul_f32 v23, 0x3f29c268, v43
	v_mul_f32_e32 v48, 0xbf6f5d39, v43
	v_sub_f32_e32 v16, v52, v22
	v_add_f32_e32 v46, v52, v22
	s_delay_alu instid0(VALU_DEP_1) | instskip(NEXT) | instid1(VALU_DEP_1)
	v_fmamk_f32 v22, v46, 0xbeb58ec6, v48
	v_dual_add_f32 v15, v22, v15 :: v_dual_fmamk_f32 v22, v16, 0x3f6f5d39, v47
	s_delay_alu instid0(VALU_DEP_1) | instskip(SKIP_2) | instid1(VALU_DEP_1)
	v_dual_fmac_f32 v47, 0xbf6f5d39, v16 :: v_dual_add_f32 v18, v22, v18
	v_fmamk_f32 v22, v46, 0xbf3f9e67, v23
	v_fma_f32 v23, 0xbf3f9e67, v46, -v23
	v_dual_add_f32 v21, v23, v21 :: v_dual_add_f32 v32, v44, v32
	v_mul_f32_e32 v44, 0xbf3f9e67, v17
	v_add_f32_e32 v14, v25, v14
	v_fma_f32 v25, 0xbeb58ec6, v46, -v48
	s_delay_alu instid0(VALU_DEP_1) | instskip(SKIP_3) | instid1(VALU_DEP_1)
	v_dual_mul_f32 v48, 0x3df6dbef, v17 :: v_dual_add_f32 v25, v25, v26
	v_dual_add_f32 v26, v47, v29 :: v_dual_mul_f32 v47, 0x3eedf032, v43
	v_fmamk_f32 v29, v16, 0xbf29c268, v44
	v_fmac_f32_e32 v44, 0x3f29c268, v16
	v_add_f32_e32 v23, v44, v27
	s_delay_alu instid0(VALU_DEP_4) | instskip(SKIP_1) | instid1(VALU_DEP_2)
	v_fma_f32 v44, 0x3f62ad3f, v46, -v47
	v_mul_f32_e32 v27, 0xbf7e222b, v43
	v_dual_add_f32 v31, v44, v31 :: v_dual_add_f32 v22, v22, v24
	v_add_f32_e32 v24, v29, v28
	v_dual_fmamk_f32 v28, v46, 0x3f62ad3f, v47 :: v_dual_mul_f32 v29, 0x3f62ad3f, v17
	s_delay_alu instid0(VALU_DEP_4) | instskip(SKIP_2) | instid1(VALU_DEP_4)
	v_fmamk_f32 v47, v46, 0x3df6dbef, v27
	v_fma_f32 v27, 0x3df6dbef, v46, -v27
	v_mul_f32_e32 v44, 0xbf788fa5, v17
	v_add_f32_e32 v28, v28, v30
	v_fmamk_f32 v30, v16, 0xbeedf032, v29
	v_fmac_f32_e32 v29, 0x3eedf032, v16
	s_delay_alu instid0(VALU_DEP_4) | instskip(SKIP_1) | instid1(VALU_DEP_4)
	v_dual_add_f32 v27, v27, v34 :: v_dual_fmamk_f32 v34, v16, 0xbe750f2a, v44
	v_mul_f32_e32 v17, 0x3f116cb1, v17
	v_add_f32_e32 v30, v30, v37
	s_delay_alu instid0(VALU_DEP_4) | instskip(SKIP_4) | instid1(VALU_DEP_2)
	v_add_f32_e32 v29, v29, v33
	v_add_f32_e32 v33, v47, v35
	v_fmamk_f32 v35, v16, 0x3f7e222b, v48
	v_mul_f32_e32 v37, 0x3e750f2a, v43
	v_dual_mul_f32 v43, 0x3f52af12, v43 :: v_dual_add_f32 v34, v34, v36
	v_dual_add_f32 v35, v35, v38 :: v_dual_fmamk_f32 v38, v46, 0xbf788fa5, v37
	v_fma_f32 v37, 0xbf788fa5, v46, -v37
	s_delay_alu instid0(VALU_DEP_2) | instskip(NEXT) | instid1(VALU_DEP_2)
	v_dual_add_f32 v38, v38, v41 :: v_dual_fmamk_f32 v41, v16, 0xbf52af12, v17
	v_add_f32_e32 v37, v37, v39
	v_sub_f32_e32 v39, v12, v19
	v_add_f32_e32 v12, v12, v19
	v_fmamk_f32 v36, v46, 0x3f116cb1, v43
	v_fmac_f32_e32 v17, 0x3f52af12, v16
	v_add_f32_e32 v32, v41, v32
	v_fma_f32 v19, 0x3f116cb1, v46, -v43
	s_delay_alu instid0(VALU_DEP_4)
	v_dual_mul_f32 v41, 0x3df6dbef, v12 :: v_dual_add_f32 v36, v36, v42
	v_add_f32_e32 v42, v11, v20
	v_sub_f32_e32 v11, v11, v20
	v_fmac_f32_e32 v44, 0x3e750f2a, v16
	v_add_f32_e32 v14, v17, v14
	v_dual_fmac_f32 v48, 0xbf7e222b, v16 :: v_dual_add_f32 v13, v19, v13
	s_delay_alu instid0(VALU_DEP_3) | instskip(NEXT) | instid1(VALU_DEP_2)
	v_dual_mul_f32 v17, 0x3f7e222b, v39 :: v_dual_add_f32 v40, v44, v40
	v_dual_mul_f32 v44, 0xbf29c268, v39 :: v_dual_add_f32 v45, v48, v45
	s_delay_alu instid0(VALU_DEP_1) | instskip(NEXT) | instid1(VALU_DEP_1)
	v_fma_f32 v19, 0xbf3f9e67, v42, -v44
	v_add_f32_e32 v19, v19, v25
	v_fmamk_f32 v25, v11, 0xbf7e222b, v41
	v_mul_f32_e32 v20, 0xbf3f9e67, v12
	v_fmac_f32_e32 v41, 0x3f7e222b, v11
	v_fmamk_f32 v16, v42, 0xbf3f9e67, v44
	v_mul_f32_e32 v43, 0xbf788fa5, v12
	s_delay_alu instid0(VALU_DEP_2) | instskip(SKIP_1) | instid1(VALU_DEP_2)
	v_dual_add_f32 v15, v16, v15 :: v_dual_fmamk_f32 v16, v11, 0x3f29c268, v20
	v_fmac_f32_e32 v20, 0xbf29c268, v11
	v_add_f32_e32 v16, v16, v18
	v_fmamk_f32 v18, v42, 0x3df6dbef, v17
	v_fma_f32 v17, 0x3df6dbef, v42, -v17
	s_delay_alu instid0(VALU_DEP_1) | instskip(SKIP_3) | instid1(VALU_DEP_2)
	v_add_f32_e32 v17, v17, v21
	v_add_f32_e32 v21, v41, v23
	v_dual_mul_f32 v23, 0x3e750f2a, v39 :: v_dual_add_f32 v20, v20, v26
	v_mul_f32_e32 v26, 0xbf52af12, v39
	v_fmamk_f32 v41, v42, 0xbf788fa5, v23
	v_fma_f32 v23, 0xbf788fa5, v42, -v23
	s_delay_alu instid0(VALU_DEP_1) | instskip(SKIP_3) | instid1(VALU_DEP_2)
	v_dual_add_f32 v23, v23, v27 :: v_dual_add_f32 v18, v18, v22
	v_add_f32_e32 v22, v25, v24
	v_dual_fmamk_f32 v24, v42, 0x3f116cb1, v26 :: v_dual_mul_f32 v25, 0x3f116cb1, v12
	v_fma_f32 v26, 0x3f116cb1, v42, -v26
	v_add_f32_e32 v24, v24, v28
	s_delay_alu instid0(VALU_DEP_3) | instskip(SKIP_1) | instid1(VALU_DEP_4)
	v_fmamk_f32 v28, v11, 0x3f52af12, v25
	v_fmac_f32_e32 v25, 0xbf52af12, v11
	v_add_f32_e32 v26, v26, v31
	v_mul_f32_e32 v31, 0x3eedf032, v39
	v_mul_f32_e32 v39, 0xbf6f5d39, v39
	s_delay_alu instid0(VALU_DEP_4) | instskip(SKIP_2) | instid1(VALU_DEP_1)
	v_add_f32_e32 v25, v25, v29
	v_add_f32_e32 v29, v41, v33
	v_mul_f32_e32 v33, 0x3f62ad3f, v12
	v_fmamk_f32 v27, v11, 0xbeedf032, v33
	v_fmac_f32_e32 v33, 0x3eedf032, v11
	s_delay_alu instid0(VALU_DEP_2) | instskip(NEXT) | instid1(VALU_DEP_2)
	v_add_f32_e32 v27, v27, v34
	v_dual_add_f32 v33, v33, v40 :: v_dual_add_f32 v28, v28, v30
	v_fmamk_f32 v30, v11, 0xbe750f2a, v43
	v_fmac_f32_e32 v43, 0x3e750f2a, v11
	s_delay_alu instid0(VALU_DEP_1) | instskip(NEXT) | instid1(VALU_DEP_3)
	v_add_f32_e32 v41, v43, v45
	v_dual_add_f32 v43, v9, v10 :: v_dual_add_f32 v30, v30, v35
	v_fmamk_f32 v35, v42, 0x3f62ad3f, v31
	v_fma_f32 v31, 0x3f62ad3f, v42, -v31
	s_delay_alu instid0(VALU_DEP_2) | instskip(NEXT) | instid1(VALU_DEP_2)
	v_add_f32_e32 v35, v35, v38
	v_add_f32_e32 v31, v31, v37
	v_dual_sub_f32 v37, v9, v10 :: v_dual_add_f32 v38, v7, v8
	v_fmamk_f32 v34, v42, 0xbeb58ec6, v39
	v_fma_f32 v9, 0xbeb58ec6, v42, -v39
	s_delay_alu instid0(VALU_DEP_3) | instskip(SKIP_1) | instid1(VALU_DEP_4)
	v_dual_sub_f32 v39, v7, v8 :: v_dual_mul_f32 v40, 0xbe750f2a, v37
	v_mul_f32_e32 v10, 0xbf788fa5, v43
	v_add_f32_e32 v34, v34, v36
	s_delay_alu instid0(VALU_DEP_3) | instskip(SKIP_1) | instid1(VALU_DEP_4)
	v_fmamk_f32 v7, v38, 0xbf788fa5, v40
	v_mul_f32_e32 v12, 0xbeb58ec6, v12
	v_fmamk_f32 v8, v39, 0x3e750f2a, v10
	v_fmac_f32_e32 v10, 0xbe750f2a, v39
	s_delay_alu instid0(VALU_DEP_4) | instskip(NEXT) | instid1(VALU_DEP_4)
	v_add_f32_e32 v7, v7, v15
	v_fmamk_f32 v36, v11, 0x3f6f5d39, v12
	v_fmac_f32_e32 v12, 0xbf6f5d39, v11
	v_add_f32_e32 v8, v8, v16
	s_delay_alu instid0(VALU_DEP_3) | instskip(NEXT) | instid1(VALU_DEP_3)
	v_add_f32_e32 v32, v36, v32
	v_add_f32_e32 v42, v12, v14
	v_mul_f32_e32 v12, 0x3eedf032, v37
	v_add_f32_e32 v36, v9, v13
	s_delay_alu instid0(VALU_DEP_2) | instskip(SKIP_1) | instid1(VALU_DEP_2)
	v_dual_mul_f32 v14, 0x3f62ad3f, v43 :: v_dual_fmamk_f32 v11, v38, 0x3f62ad3f, v12
	v_fma_f32 v15, 0x3f62ad3f, v38, -v12
	v_fmamk_f32 v13, v39, 0xbeedf032, v14
	s_delay_alu instid0(VALU_DEP_3) | instskip(SKIP_1) | instid1(VALU_DEP_1)
	v_dual_fmac_f32 v14, 0x3eedf032, v39 :: v_dual_add_f32 v11, v11, v18
	v_fma_f32 v9, 0xbf788fa5, v38, -v40
	v_add_f32_e32 v9, v9, v19
	v_mul_f32_e32 v19, 0xbf3f9e67, v43
	v_mul_f32_e32 v16, 0xbf29c268, v37
	v_add_f32_e32 v10, v10, v20
	v_mul_f32_e32 v20, 0x3f52af12, v37
	v_dual_add_f32 v12, v13, v22 :: v_dual_add_f32 v13, v15, v17
	v_fmamk_f32 v17, v39, 0x3f29c268, v19
	v_fmac_f32_e32 v19, 0xbf29c268, v39
	v_fmamk_f32 v18, v38, 0xbf3f9e67, v16
	v_mul_f32_e32 v22, 0x3f116cb1, v43
	v_add_f32_e32 v14, v14, v21
	v_fmamk_f32 v21, v38, 0x3f116cb1, v20
	s_delay_alu instid0(VALU_DEP_4) | instskip(SKIP_3) | instid1(VALU_DEP_3)
	v_add_f32_e32 v15, v18, v24
	v_fma_f32 v18, 0xbf3f9e67, v38, -v16
	v_add_f32_e32 v16, v17, v28
	v_fma_f32 v24, 0x3f116cb1, v38, -v20
	v_dual_mul_f32 v28, 0x3f7e222b, v37 :: v_dual_add_f32 v17, v18, v26
	v_add_f32_e32 v18, v19, v25
	v_add_f32_e32 v19, v21, v29
	v_fmamk_f32 v21, v39, 0xbf52af12, v22
	v_mul_f32_e32 v25, 0xbf6f5d39, v37
	v_mul_f32_e32 v26, 0xbeb58ec6, v43
	v_fmac_f32_e32 v22, 0x3f52af12, v39
	s_delay_alu instid0(VALU_DEP_4) | instskip(NEXT) | instid1(VALU_DEP_4)
	v_dual_add_f32 v20, v21, v30 :: v_dual_add_f32 v21, v24, v23
	v_fmamk_f32 v23, v38, 0xbeb58ec6, v25
	s_delay_alu instid0(VALU_DEP_4)
	v_fmamk_f32 v24, v39, 0x3f6f5d39, v26
	v_fma_f32 v25, 0xbeb58ec6, v38, -v25
	v_mul_f32_e32 v30, 0x3df6dbef, v43
	v_add_f32_e32 v22, v22, v41
	v_fmac_f32_e32 v26, 0xbf6f5d39, v39
	v_add_f32_e32 v24, v24, v27
	v_add_f32_e32 v25, v25, v31
	v_fmamk_f32 v29, v39, 0xbf7e222b, v30
	v_fmamk_f32 v27, v38, 0x3df6dbef, v28
	v_fma_f32 v31, 0x3df6dbef, v38, -v28
	v_fmac_f32_e32 v30, 0x3f7e222b, v39
	s_delay_alu instid0(VALU_DEP_4) | instskip(NEXT) | instid1(VALU_DEP_4)
	v_dual_add_f32 v23, v23, v35 :: v_dual_add_f32 v28, v29, v32
	v_add_f32_e32 v27, v27, v34
	s_delay_alu instid0(VALU_DEP_3)
	v_dual_add_f32 v29, v31, v36 :: v_dual_add_f32 v30, v30, v42
	v_add_f32_e32 v26, v26, v33
	ds_store_2addr_b64 v121, v[0:1], v[7:8] offset1:117
	ds_store_2addr_b64 v6, v[11:12], v[15:16] offset0:106 offset1:223
	ds_store_2addr_b64 v5, v[19:20], v[23:24] offset0:84 offset1:201
	;; [unrolled: 1-line block ×5, first 2 shown]
	ds_store_b64 v121, v[9:10] offset:11232
	global_wb scope:SCOPE_SE
	s_wait_dscnt 0x0
	s_barrier_signal -1
	s_barrier_wait -1
	global_inv scope:SCOPE_SE
	ds_load_2addr_b64 v[7:10], v121 offset1:117
	v_mad_co_u64_u32 v[23:24], null, s6, v100, 0
	v_mad_co_u64_u32 v[25:26], null, s4, v122, 0
	ds_load_b64 v[39:40], v121 offset:11232
	s_wait_dscnt 0x1
	v_mul_f32_e32 v0, v112, v8
	v_mul_f32_e32 v1, v112, v7
	s_delay_alu instid0(VALU_DEP_2) | instskip(SKIP_1) | instid1(VALU_DEP_3)
	v_dual_mul_f32 v13, v114, v9 :: v_dual_fmac_f32 v0, v111, v7
	v_mul_f32_e32 v7, v114, v10
	v_fma_f32 v8, v111, v8, -v1
	s_wait_dscnt 0x0
	v_mul_f32_e32 v50, v104, v40
	v_mul_f32_e32 v51, v104, v39
	v_cvt_f64_f32_e32 v[0:1], v0
	v_fmac_f32_e32 v7, v113, v9
	v_cvt_f64_f32_e32 v[11:12], v8
	v_fma_f32 v8, v113, v10, -v13
	v_fmac_f32_e32 v50, v103, v39
	v_fma_f32 v51, v103, v40, -v51
	v_cvt_f64_f32_e32 v[13:14], v7
	s_delay_alu instid0(VALU_DEP_4) | instskip(SKIP_4) | instid1(VALU_DEP_1)
	v_cvt_f64_f32_e32 v[15:16], v8
	ds_load_2addr_b64 v[6:9], v6 offset0:106 offset1:223
	v_cvt_f64_f32_e32 v[51:52], v51
	s_wait_dscnt 0x0
	v_mul_f32_e32 v10, v110, v7
	v_fmac_f32_e32 v10, v109, v6
	s_wait_alu 0xfffe
	v_mul_f64_e32 v[0:1], s[2:3], v[0:1]
	s_delay_alu instid0(VALU_DEP_2) | instskip(SKIP_4) | instid1(VALU_DEP_3)
	v_cvt_f64_f32_e32 v[21:22], v10
	v_mul_f64_e32 v[17:18], s[2:3], v[11:12]
	v_dual_mov_b32 v10, v24 :: v_dual_mov_b32 v11, v26
	v_mul_f64_e32 v[19:20], s[2:3], v[13:14]
	v_mul_f64_e32 v[14:15], s[2:3], v[15:16]
	v_mad_co_u64_u32 v[26:27], null, s7, v100, v[10:11]
	v_mad_co_u64_u32 v[27:28], null, s5, v122, v[11:12]
	ds_load_2addr_b64 v[10:13], v5 offset0:84 offset1:201
	v_mov_b32_e32 v24, v26
	v_mov_b32_e32 v26, v27
	s_delay_alu instid0(VALU_DEP_2) | instskip(NEXT) | instid1(VALU_DEP_2)
	v_lshlrev_b64_e32 v[23:24], 3, v[23:24]
	v_lshlrev_b64_e32 v[25:26], 3, v[25:26]
	s_delay_alu instid0(VALU_DEP_2) | instskip(SKIP_1) | instid1(VALU_DEP_3)
	v_add_co_u32 v53, vcc_lo, s0, v23
	s_wait_alu 0xfffd
	v_add_co_ci_u32_e32 v54, vcc_lo, s1, v24, vcc_lo
	s_mul_u64 s[0:1], s[4:5], 0x3a8
	s_wait_dscnt 0x0
	v_mul_f32_e32 v35, v93, v13
	v_add_co_u32 v24, vcc_lo, v53, v25
	s_wait_alu 0xfffd
	v_add_co_ci_u32_e32 v25, vcc_lo, v54, v26, vcc_lo
	v_cvt_f32_f64_e32 v16, v[0:1]
	v_mul_f32_e32 v0, v110, v6
	v_mul_f32_e32 v1, v106, v9
	v_cvt_f32_f64_e32 v17, v[17:18]
	v_fmac_f32_e32 v35, v92, v12
	v_mul_f32_e32 v12, v93, v12
	v_fma_f32 v0, v109, v7, -v0
	ds_load_2addr_b64 v[4:7], v4 offset0:62 offset1:179
	v_cvt_f32_f64_e32 v18, v[19:20]
	v_cvt_f32_f64_e32 v19, v[14:15]
	v_mul_f64_e32 v[14:15], s[2:3], v[21:22]
	v_cvt_f64_f32_e32 v[20:21], v0
	v_mul_f32_e32 v0, v106, v8
	v_dual_fmac_f32 v1, v105, v8 :: v_dual_mul_f32 v8, v108, v10
	v_mul_f32_e32 v22, v108, v11
	v_fma_f32 v12, v92, v13, -v12
	s_delay_alu instid0(VALU_DEP_4) | instskip(NEXT) | instid1(VALU_DEP_4)
	v_fma_f32 v0, v105, v9, -v0
	v_cvt_f64_f32_e32 v[27:28], v1
	v_fma_f32 v1, v107, v11, -v8
	v_fmac_f32_e32 v22, v107, v10
	ds_load_2addr_b64 v[8:11], v3 offset0:40 offset1:157
	v_cvt_f64_f32_e32 v[29:30], v0
	v_cvt_f64_f32_e32 v[35:36], v35
	;; [unrolled: 1-line block ×3, first 2 shown]
	ds_load_2addr_b64 v[0:3], v2 offset0:18 offset1:135
	v_cvt_f64_f32_e32 v[31:32], v22
	s_wait_dscnt 0x2
	v_mul_f32_e32 v22, v97, v5
	v_mul_f32_e32 v38, v99, v7
	;; [unrolled: 1-line block ×4, first 2 shown]
	s_delay_alu instid0(VALU_DEP_4) | instskip(NEXT) | instid1(VALU_DEP_4)
	v_fmac_f32_e32 v22, v96, v4
	v_fmac_f32_e32 v38, v98, v6
	s_delay_alu instid0(VALU_DEP_4) | instskip(NEXT) | instid1(VALU_DEP_4)
	v_fma_f32 v41, v98, v7, -v13
	v_fma_f32 v37, v96, v5, -v37
	v_cvt_f64_f32_e32 v[4:5], v12
	v_cvt_f64_f32_e32 v[6:7], v22
	s_delay_alu instid0(VALU_DEP_4) | instskip(NEXT) | instid1(VALU_DEP_4)
	v_cvt_f64_f32_e32 v[41:42], v41
	v_cvt_f64_f32_e32 v[12:13], v37
	s_wait_dscnt 0x1
	v_mul_f32_e32 v22, v89, v9
	v_dual_mul_f32 v43, v89, v8 :: v_dual_mul_f32 v44, v95, v11
	v_mul_f32_e32 v45, v95, v10
	s_wait_dscnt 0x0
	s_delay_alu instid0(VALU_DEP_3) | instskip(NEXT) | instid1(VALU_DEP_3)
	v_dual_mul_f32 v47, v91, v1 :: v_dual_fmac_f32 v22, v88, v8
	v_fma_f32 v43, v88, v9, -v43
	v_mul_f32_e32 v49, v102, v2
	v_fmac_f32_e32 v44, v94, v10
	s_delay_alu instid0(VALU_DEP_4)
	v_fmac_f32_e32 v47, v90, v0
	v_mul_f32_e32 v0, v91, v0
	v_cvt_f64_f32_e32 v[8:9], v22
	v_mul_f32_e32 v22, v102, v3
	v_fma_f32 v45, v94, v11, -v45
	v_cvt_f64_f32_e32 v[37:38], v38
	v_fma_f32 v0, v90, v1, -v0
	v_fma_f32 v49, v101, v3, -v49
	v_fmac_f32_e32 v22, v101, v2
	v_cvt_f64_f32_e32 v[10:11], v43
	v_cvt_f64_f32_e32 v[43:44], v44
	;; [unrolled: 1-line block ×8, first 2 shown]
	v_mul_f64_e32 v[20:21], s[2:3], v[20:21]
	v_mul_f64_e32 v[22:23], s[2:3], v[27:28]
	;; [unrolled: 1-line block ×6, first 2 shown]
	s_wait_alu 0xfffe
	v_add_co_u32 v33, vcc_lo, v24, s0
	v_mul_f64_e32 v[4:5], s[2:3], v[4:5]
	v_mul_f64_e32 v[6:7], s[2:3], v[6:7]
	s_wait_alu 0xfffd
	v_add_co_ci_u32_e32 v34, vcc_lo, s1, v25, vcc_lo
	v_mul_f64_e32 v[12:13], s[2:3], v[12:13]
	s_clause 0x1
	global_store_b64 v[24:25], v[16:17], off
	global_store_b64 v[33:34], v[18:19], off
	v_mul_f64_e32 v[18:19], s[2:3], v[41:42]
	v_cvt_f32_f64_e32 v14, v[14:15]
	v_mul_f64_e32 v[8:9], s[2:3], v[8:9]
	v_mul_f64_e32 v[16:17], s[2:3], v[37:38]
	;; [unrolled: 1-line block ×11, first 2 shown]
	v_cvt_f32_f64_e32 v15, v[20:21]
	v_cvt_f32_f64_e32 v22, v[22:23]
	v_cvt_f32_f64_e32 v23, v[27:28]
	v_add_co_u32 v20, vcc_lo, v33, s0
	s_wait_alu 0xfffd
	v_add_co_ci_u32_e32 v21, vcc_lo, s1, v34, vcc_lo
	v_cvt_f32_f64_e32 v28, v[29:30]
	v_cvt_f32_f64_e32 v29, v[31:32]
	v_cvt_f32_f64_e32 v32, v[35:36]
	v_cvt_f32_f64_e32 v33, v[4:5]
	v_add_co_u32 v26, vcc_lo, v20, s0
	s_wait_alu 0xfffd
	v_add_co_ci_u32_e32 v27, vcc_lo, s1, v21, vcc_lo
	v_cvt_f32_f64_e32 v4, v[6:7]
	v_cvt_f32_f64_e32 v5, v[12:13]
	v_add_co_u32 v30, vcc_lo, v26, s0
	s_wait_alu 0xfffd
	v_add_co_ci_u32_e32 v31, vcc_lo, s1, v27, vcc_lo
	v_cvt_f32_f64_e32 v13, v[18:19]
	s_delay_alu instid0(VALU_DEP_3)
	v_add_co_u32 v6, vcc_lo, v30, s0
	v_cvt_f32_f64_e32 v8, v[8:9]
	v_cvt_f32_f64_e32 v12, v[16:17]
	s_wait_alu 0xfffd
	v_add_co_ci_u32_e32 v7, vcc_lo, s1, v31, vcc_lo
	v_add_co_u32 v18, vcc_lo, v6, s0
	v_cvt_f32_f64_e32 v9, v[10:11]
	v_cvt_f32_f64_e32 v10, v[24:25]
	v_cvt_f32_f64_e32 v11, v[37:38]
	v_cvt_f32_f64_e32 v16, v[41:42]
	v_cvt_f32_f64_e32 v17, v[0:1]
	v_cvt_f32_f64_e32 v0, v[2:3]
	v_cvt_f32_f64_e32 v1, v[39:40]
	v_cvt_f32_f64_e32 v2, v[43:44]
	v_cvt_f32_f64_e32 v3, v[45:46]
	s_wait_alu 0xfffd
	v_add_co_ci_u32_e32 v19, vcc_lo, s1, v7, vcc_lo
	global_store_b64 v[20:21], v[14:15], off
	v_add_co_u32 v14, vcc_lo, v18, s0
	s_wait_alu 0xfffd
	v_add_co_ci_u32_e32 v15, vcc_lo, s1, v19, vcc_lo
	global_store_b64 v[26:27], v[22:23], off
	v_add_co_u32 v20, vcc_lo, v14, s0
	;; [unrolled: 4-line block ×6, first 2 shown]
	s_wait_alu 0xfffd
	v_add_co_ci_u32_e32 v13, vcc_lo, s1, v5, vcc_lo
	global_store_b64 v[20:21], v[8:9], off
	global_store_b64 v[22:23], v[10:11], off
	;; [unrolled: 1-line block ×5, first 2 shown]
.LBB0_18:
	s_nop 0
	s_sendmsg sendmsg(MSG_DEALLOC_VGPRS)
	s_endpgm
	.section	.rodata,"a",@progbits
	.p2align	6, 0x0
	.amdhsa_kernel bluestein_single_back_len1521_dim1_sp_op_CI_CI
		.amdhsa_group_segment_fixed_size 12168
		.amdhsa_private_segment_fixed_size 0
		.amdhsa_kernarg_size 104
		.amdhsa_user_sgpr_count 2
		.amdhsa_user_sgpr_dispatch_ptr 0
		.amdhsa_user_sgpr_queue_ptr 0
		.amdhsa_user_sgpr_kernarg_segment_ptr 1
		.amdhsa_user_sgpr_dispatch_id 0
		.amdhsa_user_sgpr_private_segment_size 0
		.amdhsa_wavefront_size32 1
		.amdhsa_uses_dynamic_stack 0
		.amdhsa_enable_private_segment 0
		.amdhsa_system_sgpr_workgroup_id_x 1
		.amdhsa_system_sgpr_workgroup_id_y 0
		.amdhsa_system_sgpr_workgroup_id_z 0
		.amdhsa_system_sgpr_workgroup_info 0
		.amdhsa_system_vgpr_workitem_id 0
		.amdhsa_next_free_vgpr 255
		.amdhsa_next_free_sgpr 20
		.amdhsa_reserve_vcc 1
		.amdhsa_float_round_mode_32 0
		.amdhsa_float_round_mode_16_64 0
		.amdhsa_float_denorm_mode_32 3
		.amdhsa_float_denorm_mode_16_64 3
		.amdhsa_fp16_overflow 0
		.amdhsa_workgroup_processor_mode 1
		.amdhsa_memory_ordered 1
		.amdhsa_forward_progress 0
		.amdhsa_round_robin_scheduling 0
		.amdhsa_exception_fp_ieee_invalid_op 0
		.amdhsa_exception_fp_denorm_src 0
		.amdhsa_exception_fp_ieee_div_zero 0
		.amdhsa_exception_fp_ieee_overflow 0
		.amdhsa_exception_fp_ieee_underflow 0
		.amdhsa_exception_fp_ieee_inexact 0
		.amdhsa_exception_int_div_zero 0
	.end_amdhsa_kernel
	.text
.Lfunc_end0:
	.size	bluestein_single_back_len1521_dim1_sp_op_CI_CI, .Lfunc_end0-bluestein_single_back_len1521_dim1_sp_op_CI_CI
                                        ; -- End function
	.section	.AMDGPU.csdata,"",@progbits
; Kernel info:
; codeLenInByte = 20424
; NumSgprs: 22
; NumVgprs: 255
; ScratchSize: 0
; MemoryBound: 0
; FloatMode: 240
; IeeeMode: 1
; LDSByteSize: 12168 bytes/workgroup (compile time only)
; SGPRBlocks: 2
; VGPRBlocks: 31
; NumSGPRsForWavesPerEU: 22
; NumVGPRsForWavesPerEU: 255
; Occupancy: 5
; WaveLimiterHint : 1
; COMPUTE_PGM_RSRC2:SCRATCH_EN: 0
; COMPUTE_PGM_RSRC2:USER_SGPR: 2
; COMPUTE_PGM_RSRC2:TRAP_HANDLER: 0
; COMPUTE_PGM_RSRC2:TGID_X_EN: 1
; COMPUTE_PGM_RSRC2:TGID_Y_EN: 0
; COMPUTE_PGM_RSRC2:TGID_Z_EN: 0
; COMPUTE_PGM_RSRC2:TIDIG_COMP_CNT: 0
	.text
	.p2alignl 7, 3214868480
	.fill 96, 4, 3214868480
	.type	__hip_cuid_39ef24721de9df9,@object ; @__hip_cuid_39ef24721de9df9
	.section	.bss,"aw",@nobits
	.globl	__hip_cuid_39ef24721de9df9
__hip_cuid_39ef24721de9df9:
	.byte	0                               ; 0x0
	.size	__hip_cuid_39ef24721de9df9, 1

	.ident	"AMD clang version 19.0.0git (https://github.com/RadeonOpenCompute/llvm-project roc-6.4.0 25133 c7fe45cf4b819c5991fe208aaa96edf142730f1d)"
	.section	".note.GNU-stack","",@progbits
	.addrsig
	.addrsig_sym __hip_cuid_39ef24721de9df9
	.amdgpu_metadata
---
amdhsa.kernels:
  - .args:
      - .actual_access:  read_only
        .address_space:  global
        .offset:         0
        .size:           8
        .value_kind:     global_buffer
      - .actual_access:  read_only
        .address_space:  global
        .offset:         8
        .size:           8
        .value_kind:     global_buffer
      - .actual_access:  read_only
        .address_space:  global
        .offset:         16
        .size:           8
        .value_kind:     global_buffer
      - .actual_access:  read_only
        .address_space:  global
        .offset:         24
        .size:           8
        .value_kind:     global_buffer
      - .actual_access:  read_only
        .address_space:  global
        .offset:         32
        .size:           8
        .value_kind:     global_buffer
      - .offset:         40
        .size:           8
        .value_kind:     by_value
      - .address_space:  global
        .offset:         48
        .size:           8
        .value_kind:     global_buffer
      - .address_space:  global
        .offset:         56
        .size:           8
        .value_kind:     global_buffer
      - .address_space:  global
        .offset:         64
        .size:           8
        .value_kind:     global_buffer
      - .address_space:  global
        .offset:         72
        .size:           8
        .value_kind:     global_buffer
      - .offset:         80
        .size:           4
        .value_kind:     by_value
      - .address_space:  global
        .offset:         88
        .size:           8
        .value_kind:     global_buffer
      - .address_space:  global
        .offset:         96
        .size:           8
        .value_kind:     global_buffer
    .group_segment_fixed_size: 12168
    .kernarg_segment_align: 8
    .kernarg_segment_size: 104
    .language:       OpenCL C
    .language_version:
      - 2
      - 0
    .max_flat_workgroup_size: 117
    .name:           bluestein_single_back_len1521_dim1_sp_op_CI_CI
    .private_segment_fixed_size: 0
    .sgpr_count:     22
    .sgpr_spill_count: 0
    .symbol:         bluestein_single_back_len1521_dim1_sp_op_CI_CI.kd
    .uniform_work_group_size: 1
    .uses_dynamic_stack: false
    .vgpr_count:     255
    .vgpr_spill_count: 0
    .wavefront_size: 32
    .workgroup_processor_mode: 1
amdhsa.target:   amdgcn-amd-amdhsa--gfx1201
amdhsa.version:
  - 1
  - 2
...

	.end_amdgpu_metadata
